;; amdgpu-corpus repo=ROCm/rocFFT kind=compiled arch=gfx1030 opt=O3
	.text
	.amdgcn_target "amdgcn-amd-amdhsa--gfx1030"
	.amdhsa_code_object_version 6
	.protected	fft_rtc_back_len3456_factors_6_6_6_4_4_wgs_144_tpt_144_halfLds_half_op_CI_CI_unitstride_sbrr_dirReg ; -- Begin function fft_rtc_back_len3456_factors_6_6_6_4_4_wgs_144_tpt_144_halfLds_half_op_CI_CI_unitstride_sbrr_dirReg
	.globl	fft_rtc_back_len3456_factors_6_6_6_4_4_wgs_144_tpt_144_halfLds_half_op_CI_CI_unitstride_sbrr_dirReg
	.p2align	8
	.type	fft_rtc_back_len3456_factors_6_6_6_4_4_wgs_144_tpt_144_halfLds_half_op_CI_CI_unitstride_sbrr_dirReg,@function
fft_rtc_back_len3456_factors_6_6_6_4_4_wgs_144_tpt_144_halfLds_half_op_CI_CI_unitstride_sbrr_dirReg: ; @fft_rtc_back_len3456_factors_6_6_6_4_4_wgs_144_tpt_144_halfLds_half_op_CI_CI_unitstride_sbrr_dirReg
; %bb.0:
	s_clause 0x2
	s_load_dwordx4 s[12:15], s[4:5], 0x0
	s_load_dwordx4 s[8:11], s[4:5], 0x58
	;; [unrolled: 1-line block ×3, first 2 shown]
	v_mul_u32_u24_e32 v1, 0x1c8, v0
	v_mov_b32_e32 v3, 0
	v_add_nc_u32_sdwa v5, s6, v1 dst_sel:DWORD dst_unused:UNUSED_PAD src0_sel:DWORD src1_sel:WORD_1
	v_mov_b32_e32 v1, 0
	v_mov_b32_e32 v6, v3
	v_mov_b32_e32 v2, 0
	s_waitcnt lgkmcnt(0)
	v_cmp_lt_u64_e64 s0, s[14:15], 2
	s_and_b32 vcc_lo, exec_lo, s0
	s_cbranch_vccnz .LBB0_8
; %bb.1:
	s_load_dwordx2 s[0:1], s[4:5], 0x10
	v_mov_b32_e32 v1, 0
	v_mov_b32_e32 v2, 0
	s_add_u32 s2, s18, 8
	s_addc_u32 s3, s19, 0
	s_add_u32 s6, s16, 8
	s_addc_u32 s7, s17, 0
	v_mov_b32_e32 v19, v2
	v_mov_b32_e32 v18, v1
	s_mov_b64 s[22:23], 1
	s_waitcnt lgkmcnt(0)
	s_add_u32 s20, s0, 8
	s_addc_u32 s21, s1, 0
.LBB0_2:                                ; =>This Inner Loop Header: Depth=1
	s_load_dwordx2 s[24:25], s[20:21], 0x0
                                        ; implicit-def: $vgpr20_vgpr21
	s_mov_b32 s0, exec_lo
	s_waitcnt lgkmcnt(0)
	v_or_b32_e32 v4, s25, v6
	v_cmpx_ne_u64_e32 0, v[3:4]
	s_xor_b32 s1, exec_lo, s0
	s_cbranch_execz .LBB0_4
; %bb.3:                                ;   in Loop: Header=BB0_2 Depth=1
	v_cvt_f32_u32_e32 v4, s24
	v_cvt_f32_u32_e32 v7, s25
	s_sub_u32 s0, 0, s24
	s_subb_u32 s26, 0, s25
	v_fmac_f32_e32 v4, 0x4f800000, v7
	v_rcp_f32_e32 v4, v4
	v_mul_f32_e32 v4, 0x5f7ffffc, v4
	v_mul_f32_e32 v7, 0x2f800000, v4
	v_trunc_f32_e32 v7, v7
	v_fmac_f32_e32 v4, 0xcf800000, v7
	v_cvt_u32_f32_e32 v7, v7
	v_cvt_u32_f32_e32 v4, v4
	v_mul_lo_u32 v8, s0, v7
	v_mul_hi_u32 v9, s0, v4
	v_mul_lo_u32 v10, s26, v4
	v_add_nc_u32_e32 v8, v9, v8
	v_mul_lo_u32 v9, s0, v4
	v_add_nc_u32_e32 v8, v8, v10
	v_mul_hi_u32 v10, v4, v9
	v_mul_lo_u32 v11, v4, v8
	v_mul_hi_u32 v12, v4, v8
	v_mul_hi_u32 v13, v7, v9
	v_mul_lo_u32 v9, v7, v9
	v_mul_hi_u32 v14, v7, v8
	v_mul_lo_u32 v8, v7, v8
	v_add_co_u32 v10, vcc_lo, v10, v11
	v_add_co_ci_u32_e32 v11, vcc_lo, 0, v12, vcc_lo
	v_add_co_u32 v9, vcc_lo, v10, v9
	v_add_co_ci_u32_e32 v9, vcc_lo, v11, v13, vcc_lo
	v_add_co_ci_u32_e32 v10, vcc_lo, 0, v14, vcc_lo
	v_add_co_u32 v8, vcc_lo, v9, v8
	v_add_co_ci_u32_e32 v9, vcc_lo, 0, v10, vcc_lo
	v_add_co_u32 v4, vcc_lo, v4, v8
	v_add_co_ci_u32_e32 v7, vcc_lo, v7, v9, vcc_lo
	v_mul_hi_u32 v8, s0, v4
	v_mul_lo_u32 v10, s26, v4
	v_mul_lo_u32 v9, s0, v7
	v_add_nc_u32_e32 v8, v8, v9
	v_mul_lo_u32 v9, s0, v4
	v_add_nc_u32_e32 v8, v8, v10
	v_mul_hi_u32 v10, v4, v9
	v_mul_lo_u32 v11, v4, v8
	v_mul_hi_u32 v12, v4, v8
	v_mul_hi_u32 v13, v7, v9
	v_mul_lo_u32 v9, v7, v9
	v_mul_hi_u32 v14, v7, v8
	v_mul_lo_u32 v8, v7, v8
	v_add_co_u32 v10, vcc_lo, v10, v11
	v_add_co_ci_u32_e32 v11, vcc_lo, 0, v12, vcc_lo
	v_add_co_u32 v9, vcc_lo, v10, v9
	v_add_co_ci_u32_e32 v9, vcc_lo, v11, v13, vcc_lo
	v_add_co_ci_u32_e32 v10, vcc_lo, 0, v14, vcc_lo
	v_add_co_u32 v8, vcc_lo, v9, v8
	v_add_co_ci_u32_e32 v9, vcc_lo, 0, v10, vcc_lo
	v_add_co_u32 v4, vcc_lo, v4, v8
	v_add_co_ci_u32_e32 v11, vcc_lo, v7, v9, vcc_lo
	v_mul_hi_u32 v13, v5, v4
	v_mad_u64_u32 v[9:10], null, v6, v4, 0
	v_mad_u64_u32 v[7:8], null, v5, v11, 0
	;; [unrolled: 1-line block ×3, first 2 shown]
	v_add_co_u32 v4, vcc_lo, v13, v7
	v_add_co_ci_u32_e32 v7, vcc_lo, 0, v8, vcc_lo
	v_add_co_u32 v4, vcc_lo, v4, v9
	v_add_co_ci_u32_e32 v4, vcc_lo, v7, v10, vcc_lo
	v_add_co_ci_u32_e32 v7, vcc_lo, 0, v12, vcc_lo
	v_add_co_u32 v4, vcc_lo, v4, v11
	v_add_co_ci_u32_e32 v9, vcc_lo, 0, v7, vcc_lo
	v_mul_lo_u32 v10, s25, v4
	v_mad_u64_u32 v[7:8], null, s24, v4, 0
	v_mul_lo_u32 v11, s24, v9
	v_sub_co_u32 v7, vcc_lo, v5, v7
	v_add3_u32 v8, v8, v11, v10
	v_sub_nc_u32_e32 v10, v6, v8
	v_subrev_co_ci_u32_e64 v10, s0, s25, v10, vcc_lo
	v_add_co_u32 v11, s0, v4, 2
	v_add_co_ci_u32_e64 v12, s0, 0, v9, s0
	v_sub_co_u32 v13, s0, v7, s24
	v_sub_co_ci_u32_e32 v8, vcc_lo, v6, v8, vcc_lo
	v_subrev_co_ci_u32_e64 v10, s0, 0, v10, s0
	v_cmp_le_u32_e32 vcc_lo, s24, v13
	v_cmp_eq_u32_e64 s0, s25, v8
	v_cndmask_b32_e64 v13, 0, -1, vcc_lo
	v_cmp_le_u32_e32 vcc_lo, s25, v10
	v_cndmask_b32_e64 v14, 0, -1, vcc_lo
	v_cmp_le_u32_e32 vcc_lo, s24, v7
	;; [unrolled: 2-line block ×3, first 2 shown]
	v_cndmask_b32_e64 v15, 0, -1, vcc_lo
	v_cmp_eq_u32_e32 vcc_lo, s25, v10
	v_cndmask_b32_e64 v7, v15, v7, s0
	v_cndmask_b32_e32 v10, v14, v13, vcc_lo
	v_add_co_u32 v13, vcc_lo, v4, 1
	v_add_co_ci_u32_e32 v14, vcc_lo, 0, v9, vcc_lo
	v_cmp_ne_u32_e32 vcc_lo, 0, v10
	v_cndmask_b32_e32 v8, v14, v12, vcc_lo
	v_cndmask_b32_e32 v10, v13, v11, vcc_lo
	v_cmp_ne_u32_e32 vcc_lo, 0, v7
	v_cndmask_b32_e32 v21, v9, v8, vcc_lo
	v_cndmask_b32_e32 v20, v4, v10, vcc_lo
.LBB0_4:                                ;   in Loop: Header=BB0_2 Depth=1
	s_andn2_saveexec_b32 s0, s1
	s_cbranch_execz .LBB0_6
; %bb.5:                                ;   in Loop: Header=BB0_2 Depth=1
	v_cvt_f32_u32_e32 v4, s24
	s_sub_i32 s1, 0, s24
	v_mov_b32_e32 v21, v3
	v_rcp_iflag_f32_e32 v4, v4
	v_mul_f32_e32 v4, 0x4f7ffffe, v4
	v_cvt_u32_f32_e32 v4, v4
	v_mul_lo_u32 v7, s1, v4
	v_mul_hi_u32 v7, v4, v7
	v_add_nc_u32_e32 v4, v4, v7
	v_mul_hi_u32 v4, v5, v4
	v_mul_lo_u32 v7, v4, s24
	v_add_nc_u32_e32 v8, 1, v4
	v_sub_nc_u32_e32 v7, v5, v7
	v_subrev_nc_u32_e32 v9, s24, v7
	v_cmp_le_u32_e32 vcc_lo, s24, v7
	v_cndmask_b32_e32 v7, v7, v9, vcc_lo
	v_cndmask_b32_e32 v4, v4, v8, vcc_lo
	v_cmp_le_u32_e32 vcc_lo, s24, v7
	v_add_nc_u32_e32 v8, 1, v4
	v_cndmask_b32_e32 v20, v4, v8, vcc_lo
.LBB0_6:                                ;   in Loop: Header=BB0_2 Depth=1
	s_or_b32 exec_lo, exec_lo, s0
	v_mul_lo_u32 v4, v21, s24
	v_mul_lo_u32 v9, v20, s25
	s_load_dwordx2 s[0:1], s[6:7], 0x0
	v_mad_u64_u32 v[7:8], null, v20, s24, 0
	s_load_dwordx2 s[24:25], s[2:3], 0x0
	s_add_u32 s22, s22, 1
	s_addc_u32 s23, s23, 0
	s_add_u32 s2, s2, 8
	s_addc_u32 s3, s3, 0
	s_add_u32 s6, s6, 8
	v_add3_u32 v4, v8, v9, v4
	v_sub_co_u32 v5, vcc_lo, v5, v7
	s_addc_u32 s7, s7, 0
	s_add_u32 s20, s20, 8
	v_sub_co_ci_u32_e32 v4, vcc_lo, v6, v4, vcc_lo
	s_addc_u32 s21, s21, 0
	s_waitcnt lgkmcnt(0)
	v_mul_lo_u32 v6, s0, v4
	v_mul_lo_u32 v7, s1, v5
	v_mad_u64_u32 v[1:2], null, s0, v5, v[1:2]
	v_mul_lo_u32 v4, s24, v4
	v_mul_lo_u32 v8, s25, v5
	v_mad_u64_u32 v[18:19], null, s24, v5, v[18:19]
	v_cmp_ge_u64_e64 s0, s[22:23], s[14:15]
	v_add3_u32 v2, v7, v2, v6
	v_add3_u32 v19, v8, v19, v4
	s_and_b32 vcc_lo, exec_lo, s0
	s_cbranch_vccnz .LBB0_9
; %bb.7:                                ;   in Loop: Header=BB0_2 Depth=1
	v_mov_b32_e32 v5, v20
	v_mov_b32_e32 v6, v21
	s_branch .LBB0_2
.LBB0_8:
	v_mov_b32_e32 v19, v2
	v_mov_b32_e32 v21, v6
	;; [unrolled: 1-line block ×4, first 2 shown]
.LBB0_9:
	s_load_dwordx2 s[0:1], s[4:5], 0x28
	v_mul_hi_u32 v56, 0x1c71c72, v0
	s_lshl_b64 s[4:5], s[14:15], 3
                                        ; implicit-def: $vgpr24
	s_add_u32 s2, s18, s4
	s_addc_u32 s3, s19, s5
	s_waitcnt lgkmcnt(0)
	v_cmp_gt_u64_e32 vcc_lo, s[0:1], v[20:21]
	v_cmp_le_u64_e64 s0, s[0:1], v[20:21]
	s_and_saveexec_b32 s1, s0
	s_xor_b32 s0, exec_lo, s1
; %bb.10:
	v_mul_u32_u24_e32 v1, 0x90, v56
                                        ; implicit-def: $vgpr56
	v_sub_nc_u32_e32 v24, v0, v1
                                        ; implicit-def: $vgpr0
                                        ; implicit-def: $vgpr1_vgpr2
; %bb.11:
	s_or_saveexec_b32 s1, s0
                                        ; implicit-def: $vgpr46
                                        ; implicit-def: $vgpr34
                                        ; implicit-def: $vgpr50
                                        ; implicit-def: $vgpr43
                                        ; implicit-def: $vgpr55
                                        ; implicit-def: $vgpr51
                                        ; implicit-def: $vgpr53
                                        ; implicit-def: $vgpr49
                                        ; implicit-def: $vgpr54
                                        ; implicit-def: $vgpr42
                                        ; implicit-def: $vgpr52
                                        ; implicit-def: $vgpr48
                                        ; implicit-def: $vgpr32
                                        ; implicit-def: $vgpr16
                                        ; implicit-def: $vgpr38
                                        ; implicit-def: $vgpr30
                                        ; implicit-def: $vgpr47
                                        ; implicit-def: $vgpr39
                                        ; implicit-def: $vgpr44
                                        ; implicit-def: $vgpr37
                                        ; implicit-def: $vgpr45
                                        ; implicit-def: $vgpr40
                                        ; implicit-def: $vgpr41
                                        ; implicit-def: $vgpr36
                                        ; implicit-def: $vgpr15
                                        ; implicit-def: $vgpr6
                                        ; implicit-def: $vgpr26
                                        ; implicit-def: $vgpr13
                                        ; implicit-def: $vgpr35
                                        ; implicit-def: $vgpr27
                                        ; implicit-def: $vgpr31
                                        ; implicit-def: $vgpr22
                                        ; implicit-def: $vgpr33
                                        ; implicit-def: $vgpr28
                                        ; implicit-def: $vgpr29
                                        ; implicit-def: $vgpr25
                                        ; implicit-def: $vgpr5
                                        ; implicit-def: $vgpr3
                                        ; implicit-def: $vgpr7
                                        ; implicit-def: $vgpr4
                                        ; implicit-def: $vgpr17
                                        ; implicit-def: $vgpr8
                                        ; implicit-def: $vgpr14
                                        ; implicit-def: $vgpr10
                                        ; implicit-def: $vgpr23
                                        ; implicit-def: $vgpr11
                                        ; implicit-def: $vgpr12
                                        ; implicit-def: $vgpr9
	s_xor_b32 exec_lo, exec_lo, s1
	s_cbranch_execz .LBB0_13
; %bb.12:
	s_add_u32 s4, s16, s4
	s_addc_u32 s5, s17, s5
	v_lshlrev_b64 v[1:2], 2, v[1:2]
	s_load_dwordx2 s[4:5], s[4:5], 0x0
	s_waitcnt lgkmcnt(0)
	v_mul_lo_u32 v5, s5, v20
	v_mul_lo_u32 v6, s4, v21
	v_mad_u64_u32 v[3:4], null, s4, v20, 0
	v_add3_u32 v4, v4, v6, v5
	v_mul_u32_u24_e32 v5, 0x90, v56
	v_lshlrev_b64 v[3:4], 2, v[3:4]
	v_sub_nc_u32_e32 v24, v0, v5
	v_add_co_u32 v0, s0, s8, v3
	v_add_co_ci_u32_e64 v3, s0, s9, v4, s0
	v_lshlrev_b32_e32 v4, 2, v24
	v_add_co_u32 v5, s0, v0, v1
	v_add_co_ci_u32_e64 v3, s0, v3, v2, s0
	v_or_b32_e32 v2, 0x2400, v4
	v_add_co_u32 v0, s0, v5, v4
	v_add_co_ci_u32_e64 v1, s0, 0, v3, s0
	v_add_co_u32 v2, s0, v5, v2
	v_add_co_ci_u32_e64 v3, s0, 0, v3, s0
	;; [unrolled: 2-line block ×7, first 2 shown]
	v_add_co_u32 v31, s0, 0x3000, v0
	s_clause 0x3
	global_load_dword v42, v[2:3], off
	global_load_dword v34, v[0:1], off
	global_load_dword v16, v[0:1], off offset:576
	global_load_dword v6, v[0:1], off offset:1152
	v_add_co_ci_u32_e64 v32, s0, 0, v1, s0
	s_clause 0x13
	global_load_dword v51, v[7:8], off offset:512
	global_load_dword v43, v[4:5], off offset:256
	;; [unrolled: 1-line block ×20, first 2 shown]
	s_waitcnt vmcnt(19)
	v_lshrrev_b32_e32 v55, 16, v51
	s_waitcnt vmcnt(18)
	v_lshrrev_b32_e32 v50, 16, v43
	;; [unrolled: 2-line block ×14, first 2 shown]
	v_lshrrev_b32_e32 v46, 16, v34
	v_lshrrev_b32_e32 v54, 16, v42
	v_lshrrev_b32_e32 v32, 16, v16
	v_lshrrev_b32_e32 v15, 16, v6
	s_waitcnt vmcnt(4)
	v_lshrrev_b32_e32 v5, 16, v3
	v_lshrrev_b32_e32 v7, 16, v4
	s_waitcnt vmcnt(3)
	v_lshrrev_b32_e32 v17, 16, v8
	s_waitcnt vmcnt(1)
	;; [unrolled: 2-line block ×3, first 2 shown]
	v_lshrrev_b32_e32 v23, 16, v11
	v_lshrrev_b32_e32 v12, 16, v9
.LBB0_13:
	s_or_b32 exec_lo, exec_lo, s1
	v_add_f16_e32 v0, v51, v42
	v_add_f16_e32 v1, v34, v51
	v_sub_f16_e32 v2, v55, v54
	v_add_f16_e32 v56, v55, v54
	v_sub_f16_e32 v51, v51, v42
	v_fmac_f16_e32 v34, -0.5, v0
	v_add_f16_e32 v1, v1, v42
	v_add_f16_e32 v0, v46, v55
	v_fmac_f16_e32 v46, -0.5, v56
	v_add_f16_e32 v55, v49, v48
	v_fmamk_f16 v42, v2, 0xbaee, v34
	v_fmac_f16_e32 v34, 0x3aee, v2
	v_add_f16_e32 v2, v53, v52
	v_add_f16_e32 v56, v50, v53
	;; [unrolled: 1-line block ×3, first 2 shown]
	v_fmamk_f16 v54, v51, 0x3aee, v46
	v_sub_f16_e32 v53, v53, v52
	v_fmac_f16_e32 v50, -0.5, v2
	v_sub_f16_e32 v2, v49, v48
	v_add_f16_e32 v49, v43, v49
	v_fmac_f16_e32 v43, -0.5, v55
	v_fmac_f16_e32 v46, 0xbaee, v51
	v_add_f16_e32 v52, v56, v52
	v_fmamk_f16 v51, v2, 0x3aee, v50
	v_fmac_f16_e32 v50, 0xbaee, v2
	v_add_f16_e32 v2, v49, v48
	v_fmamk_f16 v48, v53, 0xbaee, v43
	v_fmac_f16_e32 v43, 0x3aee, v53
	v_mul_f16_e32 v49, 0xbaee, v51
	v_mul_f16_e32 v53, 0xbaee, v50
	v_mul_f16_e32 v50, -0.5, v50
	v_mul_f16_e32 v55, 0x3aee, v48
	v_add_f16_e32 v56, v0, v52
	v_fmac_f16_e32 v49, 0.5, v48
	v_fmac_f16_e32 v53, -0.5, v43
	v_add_f16_e32 v48, v1, v2
	v_fmac_f16_e32 v50, 0x3aee, v43
	v_sub_f16_e32 v1, v1, v2
	v_add_f16_e32 v43, v42, v49
	v_sub_f16_e32 v2, v42, v49
	v_add_f16_e32 v42, v39, v40
	v_add_f16_e32 v58, v46, v50
	v_sub_f16_e32 v0, v0, v52
	v_add_f16_e32 v52, v16, v39
	v_sub_f16_e32 v46, v46, v50
	v_add_f16_e32 v50, v47, v45
	v_fmac_f16_e32 v16, -0.5, v42
	v_sub_f16_e32 v42, v47, v45
	v_add_f16_e32 v52, v52, v40
	v_add_f16_e32 v47, v32, v47
	v_fmac_f16_e32 v32, -0.5, v50
	v_sub_f16_e32 v39, v39, v40
	v_fmamk_f16 v40, v42, 0xbaee, v16
	v_fmac_f16_e32 v16, 0x3aee, v42
	v_add_f16_e32 v42, v44, v41
	v_add_f16_e32 v50, v37, v36
	v_fmac_f16_e32 v55, 0.5, v51
	v_add_f16_e32 v51, v34, v53
	v_sub_f16_e32 v34, v34, v53
	v_add_f16_e32 v53, v38, v44
	v_fmac_f16_e32 v38, -0.5, v42
	v_sub_f16_e32 v42, v37, v36
	v_add_f16_e32 v37, v30, v37
	v_fmac_f16_e32 v30, -0.5, v50
	v_sub_f16_e32 v44, v44, v41
	v_add_f16_e32 v45, v47, v45
	v_fmamk_f16 v47, v39, 0x3aee, v32
	v_fmac_f16_e32 v32, 0xbaee, v39
	v_fmamk_f16 v39, v42, 0x3aee, v38
	v_fmac_f16_e32 v38, 0xbaee, v42
	v_add_f16_e32 v36, v37, v36
	v_fmamk_f16 v37, v44, 0xbaee, v30
	v_fmac_f16_e32 v30, 0x3aee, v44
	v_mul_f16_e32 v42, 0xbaee, v39
	v_mul_f16_e32 v44, 0xbaee, v38
	v_mul_f16_e32 v38, -0.5, v38
	v_mul_f16_e32 v50, 0x3aee, v37
	v_add_f16_e32 v57, v54, v55
	v_fmac_f16_e32 v42, 0.5, v37
	v_fmac_f16_e32 v44, -0.5, v30
	v_fmac_f16_e32 v38, 0x3aee, v30
	v_fmac_f16_e32 v50, 0.5, v39
	v_sub_f16_e32 v49, v54, v55
	v_add_f16_e32 v41, v53, v41
	v_add_f16_e32 v30, v40, v42
	v_add_f16_e32 v39, v16, v44
	v_add_f16_e32 v54, v47, v50
	v_add_f16_e32 v55, v32, v38
	v_sub_f16_e32 v40, v40, v42
	v_sub_f16_e32 v16, v16, v44
	v_add_f16_e32 v42, v27, v28
	v_sub_f16_e32 v44, v47, v50
	v_sub_f16_e32 v47, v32, v38
	v_add_f16_e32 v32, v35, v33
	v_add_f16_e32 v53, v45, v41
	v_sub_f16_e32 v41, v45, v41
	v_add_f16_e32 v45, v6, v27
	v_fmac_f16_e32 v6, -0.5, v42
	v_sub_f16_e32 v38, v35, v33
	v_add_f16_e32 v35, v15, v35
	v_fmac_f16_e32 v15, -0.5, v32
	v_add_f16_e32 v32, v31, v29
	v_add_f16_e32 v42, v45, v28
	v_sub_f16_e32 v27, v27, v28
	v_fmamk_f16 v28, v38, 0xbaee, v6
	v_fmac_f16_e32 v6, 0x3aee, v38
	v_add_f16_e32 v38, v22, v25
	v_add_f16_e32 v45, v26, v31
	v_fmac_f16_e32 v26, -0.5, v32
	v_sub_f16_e32 v32, v22, v25
	v_add_f16_e32 v33, v35, v33
	v_fmamk_f16 v35, v27, 0x3aee, v15
	v_add_f16_e32 v22, v13, v22
	v_fmac_f16_e32 v13, -0.5, v38
	v_sub_f16_e32 v31, v31, v29
	v_fmac_f16_e32 v15, 0xbaee, v27
	v_fmamk_f16 v27, v32, 0x3aee, v26
	v_fmac_f16_e32 v26, 0xbaee, v32
	v_add_f16_e32 v22, v22, v25
	v_fmamk_f16 v25, v31, 0xbaee, v13
	v_fmac_f16_e32 v13, 0x3aee, v31
	v_mul_f16_e32 v31, 0xbaee, v27
	v_mul_f16_e32 v32, 0xbaee, v26
	v_mul_f16_e32 v26, -0.5, v26
	v_add_f16_e32 v37, v52, v36
	v_sub_f16_e32 v36, v52, v36
	v_fmac_f16_e32 v31, 0.5, v25
	v_add_f16_e32 v29, v45, v29
	v_fmac_f16_e32 v26, 0x3aee, v13
	v_fmac_f16_e32 v32, -0.5, v13
	v_mul_f16_e32 v38, 0x3aee, v25
	v_add_f16_e32 v13, v28, v31
	v_sub_f16_e32 v28, v28, v31
	v_add_f16_e32 v52, v15, v26
	v_add_f16_e32 v31, v8, v11
	v_sub_f16_e32 v15, v15, v26
	v_add_f16_e32 v26, v5, v17
	v_add_f16_e32 v25, v42, v22
	;; [unrolled: 1-line block ×3, first 2 shown]
	v_sub_f16_e32 v22, v42, v22
	v_sub_f16_e32 v42, v33, v29
	v_add_f16_e32 v29, v3, v8
	v_fmac_f16_e32 v3, -0.5, v31
	v_sub_f16_e32 v31, v17, v23
	v_add_f16_e32 v17, v17, v23
	v_add_f16_e32 v23, v26, v23
	;; [unrolled: 1-line block ×4, first 2 shown]
	v_sub_f16_e32 v8, v8, v11
	v_fmac_f16_e32 v5, -0.5, v17
	v_add_f16_e32 v11, v10, v9
	v_add_f16_e32 v17, v7, v14
	v_fmac_f16_e32 v7, -0.5, v26
	v_sub_f16_e32 v26, v10, v9
	v_add_f16_e32 v10, v4, v10
	v_fmac_f16_e32 v4, -0.5, v11
	v_sub_f16_e32 v11, v14, v12
	v_fmac_f16_e32 v38, 0.5, v27
	v_fmamk_f16 v14, v26, 0x3aee, v7
	v_fmac_f16_e32 v7, 0xbaee, v26
	v_add_f16_e32 v27, v6, v32
	v_sub_f16_e32 v6, v6, v32
	v_fmamk_f16 v32, v31, 0xbaee, v3
	v_fmac_f16_e32 v3, 0x3aee, v31
	v_fmamk_f16 v31, v8, 0x3aee, v5
	v_fmac_f16_e32 v5, 0xbaee, v8
	v_add_f16_e32 v8, v10, v9
	v_fmamk_f16 v9, v11, 0xbaee, v4
	v_fmac_f16_e32 v4, 0x3aee, v11
	v_mul_f16_e32 v11, 0xbaee, v7
	v_mul_f16_e32 v10, 0xbaee, v14
	v_mul_f16_e32 v7, -0.5, v7
	v_mul_u32_u24_e32 v26, 6, v24
	v_add_f16_e32 v12, v17, v12
	v_fmac_f16_e32 v11, -0.5, v4
	v_mul_f16_e32 v17, 0x3aee, v9
	v_fmac_f16_e32 v10, 0.5, v9
	v_fmac_f16_e32 v7, 0x3aee, v4
	v_add_f16_e32 v60, v23, v12
	v_add_f16_e32 v4, v3, v11
	v_sub_f16_e32 v3, v3, v11
	v_lshl_add_u32 v11, v26, 1, 0
	v_sub_f16_e32 v12, v23, v12
	v_pack_b32_f16 v1, v51, v1
	v_pack_b32_f16 v23, v48, v43
	;; [unrolled: 1-line block ×3, first 2 shown]
	v_add_f16_e32 v9, v29, v8
	v_fmac_f16_e32 v17, 0.5, v14
	v_add_f16_e32 v14, v32, v10
	v_sub_f16_e32 v8, v29, v8
	v_add_nc_u32_e32 v43, 0x6c0, v11
	v_pack_b32_f16 v26, v39, v36
	v_pack_b32_f16 v29, v37, v30
	s_load_dwordx2 s[2:3], s[2:3], 0x0
	v_add_f16_e32 v62, v5, v7
	v_sub_f16_e32 v10, v32, v10
	v_sub_f16_e32 v48, v5, v7
	ds_write2_b32 v11, v23, v1 offset1:1
	ds_write_b32 v11, v2 offset:8
	ds_write2_b32 v43, v29, v26 offset1:1
	v_pack_b32_f16 v1, v40, v16
	v_add_nc_u32_e32 v51, 0xd80, v11
	v_pack_b32_f16 v2, v27, v22
	v_pack_b32_f16 v5, v25, v13
	;; [unrolled: 1-line block ×3, first 2 shown]
	v_add_nc_u32_e32 v13, 0x1440, v11
	v_pack_b32_f16 v4, v4, v8
	v_pack_b32_f16 v7, v9, v14
	ds_write_b32 v11, v1 offset:1736
	v_pack_b32_f16 v1, v10, v3
	ds_write2_b32 v51, v5, v2 offset1:1
	ds_write_b32 v11, v6 offset:3464
	ds_write2_b32 v13, v7, v4 offset1:1
	v_and_b32_e32 v5, 0xff, v24
	v_mad_i32_i24 v25, v24, -10, v11
	v_pack_b32_f16 v0, v58, v0
	v_pack_b32_f16 v3, v56, v57
	ds_write_b32 v11, v1 offset:5192
	v_mul_lo_u16 v1, 0xab, v5
	v_add_f16_e32 v50, v35, v38
	v_sub_f16_e32 v59, v35, v38
	v_add_f16_e32 v61, v31, v17
	v_sub_f16_e32 v17, v31, v17
	s_waitcnt lgkmcnt(0)
	s_barrier
	buffer_gl0_inv
	ds_read_u16 v16, v25
	ds_read_u16 v10, v25 offset:288
	ds_read_u16 v2, v25 offset:576
	;; [unrolled: 1-line block ×23, first 2 shown]
	s_waitcnt lgkmcnt(0)
	s_barrier
	buffer_gl0_inv
	v_pack_b32_f16 v4, v49, v46
	ds_write2_b32 v11, v3, v0 offset1:1
	v_add_nc_u32_e32 v0, 0x90, v24
	v_mov_b32_e32 v14, 0xaaab
	v_lshrrev_b16 v7, 10, v1
	v_pack_b32_f16 v1, v55, v41
	v_pack_b32_f16 v8, v53, v54
	;; [unrolled: 1-line block ×3, first 2 shown]
	ds_write_b32 v11, v4 offset:8
	ds_write2_b32 v43, v8, v1 offset1:1
	ds_write_b32 v11, v9 offset:1736
	v_mul_u32_u24_sdwa v4, v0, v14 dst_sel:DWORD dst_unused:UNUSED_PAD src0_sel:WORD_0 src1_sel:DWORD
	v_pack_b32_f16 v1, v52, v42
	v_pack_b32_f16 v41, v45, v50
	;; [unrolled: 1-line block ×3, first 2 shown]
	v_mul_lo_u16 v3, v7, 6
	v_lshrrev_b32_e32 v8, 18, v4
	v_pack_b32_f16 v12, v62, v12
	v_pack_b32_f16 v42, v60, v61
	v_add_nc_u32_e32 v4, 0x120, v24
	ds_write2_b32 v51, v41, v1 offset1:1
	ds_write_b32 v11, v15 offset:3464
	v_mul_lo_u16 v1, v8, 6
	v_sub_nc_u16 v9, v24, v3
	v_mov_b32_e32 v3, 5
	v_pack_b32_f16 v17, v17, v48
	ds_write2_b32 v13, v42, v12 offset1:1
	v_mul_u32_u24_sdwa v13, v4, v14 dst_sel:DWORD dst_unused:UNUSED_PAD src0_sel:WORD_0 src1_sel:DWORD
	v_sub_nc_u16 v12, v0, v1
	v_mul_u32_u24_sdwa v43, v9, v3 dst_sel:DWORD dst_unused:UNUSED_PAD src0_sel:BYTE_0 src1_sel:DWORD
	ds_write_b32 v11, v17 offset:5192
	s_waitcnt lgkmcnt(0)
	v_lshrrev_b32_e32 v11, 18, v13
	v_mul_u32_u24_sdwa v1, v12, v3 dst_sel:DWORD dst_unused:UNUSED_PAD src0_sel:WORD_0 src1_sel:DWORD
	v_lshlrev_b32_e32 v57, 2, v43
	s_barrier
	buffer_gl0_inv
	v_mul_lo_u16 v13, v11, 6
	v_lshlrev_b32_e32 v17, 2, v1
	v_add_nc_u32_e32 v1, 0x1b0, v24
	global_load_dwordx4 v[41:44], v57, s[12:13]
	v_mul_lo_u16 v5, v5, 57
	v_sub_nc_u16 v13, v4, v13
	global_load_dwordx4 v[45:48], v17, s[12:13]
	v_mul_u32_u24_sdwa v14, v1, v14 dst_sel:DWORD dst_unused:UNUSED_PAD src0_sel:WORD_0 src1_sel:DWORD
	v_cmp_gt_u32_e64 s0, 0x48, v24
	v_lshrrev_b16 v5, 11, v5
	v_mul_u32_u24_sdwa v15, v13, v3 dst_sel:DWORD dst_unused:UNUSED_PAD src0_sel:WORD_0 src1_sel:DWORD
	v_lshrrev_b32_e32 v14, 18, v14
	v_lshlrev_b32_e32 v58, 2, v15
	v_mul_lo_u16 v15, v14, 6
	global_load_dwordx4 v[49:52], v58, s[12:13]
	v_sub_nc_u16 v15, v1, v15
	v_mul_u32_u24_sdwa v53, v15, v3 dst_sel:DWORD dst_unused:UNUSED_PAD src0_sel:WORD_0 src1_sel:DWORD
	v_lshlrev_b32_e32 v59, 2, v53
	s_clause 0x4
	global_load_dwordx4 v[53:56], v59, s[12:13]
	global_load_dword v57, v57, s[12:13] offset:16
	global_load_dword v60, v17, s[12:13] offset:16
	;; [unrolled: 1-line block ×4, first 2 shown]
	ds_read_u16 v61, v25 offset:1152
	ds_read_u16 v62, v25 offset:3456
	;; [unrolled: 1-line block ×21, first 2 shown]
	s_waitcnt vmcnt(7) lgkmcnt(19)
	v_mul_f16_sdwa v88, v62, v43 dst_sel:DWORD dst_unused:UNUSED_PAD src0_sel:DWORD src1_sel:WORD_1
	v_mul_f16_sdwa v84, v61, v41 dst_sel:DWORD dst_unused:UNUSED_PAD src0_sel:DWORD src1_sel:WORD_1
	;; [unrolled: 1-line block ×3, first 2 shown]
	s_waitcnt lgkmcnt(18)
	v_mul_f16_sdwa v86, v66, v42 dst_sel:DWORD dst_unused:UNUSED_PAD src0_sel:DWORD src1_sel:WORD_1
	v_mul_f16_sdwa v87, v37, v42 dst_sel:DWORD dst_unused:UNUSED_PAD src0_sel:DWORD src1_sel:WORD_1
	v_mul_f16_sdwa v89, v64, v43 dst_sel:DWORD dst_unused:UNUSED_PAD src0_sel:DWORD src1_sel:WORD_1
	s_waitcnt lgkmcnt(15)
	v_mul_f16_sdwa v90, v69, v44 dst_sel:DWORD dst_unused:UNUSED_PAD src0_sel:DWORD src1_sel:WORD_1
	v_mul_f16_sdwa v91, v35, v44 dst_sel:DWORD dst_unused:UNUSED_PAD src0_sel:DWORD src1_sel:WORD_1
	s_waitcnt vmcnt(6) lgkmcnt(14)
	v_mul_f16_sdwa v92, v70, v45 dst_sel:DWORD dst_unused:UNUSED_PAD src0_sel:DWORD src1_sel:WORD_1
	v_mul_f16_sdwa v93, v39, v45 dst_sel:DWORD dst_unused:UNUSED_PAD src0_sel:DWORD src1_sel:WORD_1
	v_fmac_f16_e32 v88, v64, v43
	v_fmac_f16_e32 v84, v63, v41
	s_waitcnt lgkmcnt(10)
	v_mul_f16_sdwa v63, v73, v47 dst_sel:DWORD dst_unused:UNUSED_PAD src0_sel:DWORD src1_sel:WORD_1
	v_fma_f16 v41, v61, v41, -v85
	v_mul_f16_sdwa v61, v40, v47 dst_sel:DWORD dst_unused:UNUSED_PAD src0_sel:DWORD src1_sel:WORD_1
	v_fmac_f16_e32 v86, v37, v42
	s_waitcnt lgkmcnt(4)
	v_mul_f16_sdwa v37, v79, v48 dst_sel:DWORD dst_unused:UNUSED_PAD src0_sel:DWORD src1_sel:WORD_1
	s_waitcnt vmcnt(5)
	v_mul_f16_sdwa v64, v71, v49 dst_sel:DWORD dst_unused:UNUSED_PAD src0_sel:DWORD src1_sel:WORD_1
	v_fma_f16 v42, v66, v42, -v87
	v_mul_f16_sdwa v66, v32, v48 dst_sel:DWORD dst_unused:UNUSED_PAD src0_sel:DWORD src1_sel:WORD_1
	v_fma_f16 v43, v62, v43, -v89
	v_fmac_f16_e32 v90, v35, v44
	v_fma_f16 v35, v69, v44, -v91
	v_fmac_f16_e32 v92, v39, v45
	;; [unrolled: 2-line block ×3, first 2 shown]
	v_mul_f16_sdwa v33, v33, v49 dst_sel:DWORD dst_unused:UNUSED_PAD src0_sel:DWORD src1_sel:WORD_1
	v_mul_f16_sdwa v62, v74, v51 dst_sel:DWORD dst_unused:UNUSED_PAD src0_sel:DWORD src1_sel:WORD_1
	;; [unrolled: 1-line block ×5, first 2 shown]
	v_fmac_f16_e32 v63, v40, v47
	v_fma_f16 v40, v73, v47, -v61
	v_fmac_f16_e32 v37, v32, v48
	v_fma_f16 v32, v79, v48, -v66
	v_mul_f16_sdwa v61, v68, v50 dst_sel:DWORD dst_unused:UNUSED_PAD src0_sel:DWORD src1_sel:WORD_1
	v_mul_f16_sdwa v39, v29, v50 dst_sel:DWORD dst_unused:UNUSED_PAD src0_sel:DWORD src1_sel:WORD_1
	v_fma_f16 v33, v71, v49, -v33
	v_fmac_f16_e32 v62, v34, v51
	v_fma_f16 v34, v74, v51, -v45
	s_waitcnt lgkmcnt(3)
	v_mul_f16_sdwa v49, v80, v52 dst_sel:DWORD dst_unused:UNUSED_PAD src0_sel:DWORD src1_sel:WORD_1
	s_waitcnt vmcnt(4)
	v_mul_f16_sdwa v51, v72, v53 dst_sel:DWORD dst_unused:UNUSED_PAD src0_sel:DWORD src1_sel:WORD_1
	v_mul_f16_sdwa v66, v76, v54 dst_sel:DWORD dst_unused:UNUSED_PAD src0_sel:DWORD src1_sel:WORD_1
	v_fmac_f16_e32 v94, v31, v46
	v_fma_f16 v31, v67, v46, -v95
	v_fmac_f16_e32 v61, v29, v50
	v_fma_f16 v29, v68, v50, -v39
	v_mul_f16_sdwa v39, v26, v52 dst_sel:DWORD dst_unused:UNUSED_PAD src0_sel:DWORD src1_sel:WORD_1
	v_mul_f16_sdwa v45, v28, v53 dst_sel:DWORD dst_unused:UNUSED_PAD src0_sel:DWORD src1_sel:WORD_1
	v_fmac_f16_e32 v49, v26, v52
	v_fmac_f16_e32 v51, v28, v53
	;; [unrolled: 1-line block ×3, first 2 shown]
	v_mul_f16_sdwa v26, v30, v54 dst_sel:DWORD dst_unused:UNUSED_PAD src0_sel:DWORD src1_sel:WORD_1
	v_mul_f16_sdwa v30, v75, v55 dst_sel:DWORD dst_unused:UNUSED_PAD src0_sel:DWORD src1_sel:WORD_1
	v_mul_f16_sdwa v28, v27, v55 dst_sel:DWORD dst_unused:UNUSED_PAD src0_sel:DWORD src1_sel:WORD_1
	s_waitcnt vmcnt(2) lgkmcnt(1)
	v_mul_f16_sdwa v46, v82, v60 dst_sel:DWORD dst_unused:UNUSED_PAD src0_sel:DWORD src1_sel:WORD_1
	v_fma_f16 v52, v80, v52, -v39
	v_mul_f16_sdwa v67, v81, v56 dst_sel:DWORD dst_unused:UNUSED_PAD src0_sel:DWORD src1_sel:WORD_1
	v_mul_f16_sdwa v39, v65, v56 dst_sel:DWORD dst_unused:UNUSED_PAD src0_sel:DWORD src1_sel:WORD_1
	v_fma_f16 v54, v76, v54, -v26
	v_fmac_f16_e32 v30, v27, v55
	v_fma_f16 v55, v75, v55, -v28
	s_waitcnt lgkmcnt(0)
	v_mul_f16_sdwa v26, v83, v57 dst_sel:DWORD dst_unused:UNUSED_PAD src0_sel:DWORD src1_sel:WORD_1
	v_mul_f16_sdwa v27, v38, v57 dst_sel:DWORD dst_unused:UNUSED_PAD src0_sel:DWORD src1_sel:WORD_1
	;; [unrolled: 1-line block ×3, first 2 shown]
	ds_read_u16 v47, v25
	v_fmac_f16_e32 v46, v36, v60
	s_waitcnt vmcnt(1)
	v_mul_f16_sdwa v36, v77, v58 dst_sel:DWORD dst_unused:UNUSED_PAD src0_sel:DWORD src1_sel:WORD_1
	v_fmac_f16_e32 v67, v65, v56
	v_fma_f16 v56, v81, v56, -v39
	v_fmac_f16_e32 v26, v38, v57
	v_fma_f16 v27, v83, v57, -v27
	v_fma_f16 v38, v82, v60, -v28
	v_mul_f16_sdwa v28, v23, v58 dst_sel:DWORD dst_unused:UNUSED_PAD src0_sel:DWORD src1_sel:WORD_1
	s_waitcnt vmcnt(0)
	v_mul_f16_sdwa v57, v78, v59 dst_sel:DWORD dst_unused:UNUSED_PAD src0_sel:DWORD src1_sel:WORD_1
	v_mul_f16_sdwa v39, v22, v59 dst_sel:DWORD dst_unused:UNUSED_PAD src0_sel:DWORD src1_sel:WORD_1
	v_fmac_f16_e32 v36, v23, v58
	v_add_f16_e32 v23, v86, v90
	v_fma_f16 v58, v77, v58, -v28
	v_fmac_f16_e32 v57, v22, v59
	v_fma_f16 v22, v78, v59, -v39
	v_add_f16_e32 v28, v16, v86
	v_fmac_f16_e32 v16, -0.5, v23
	v_sub_f16_e32 v39, v42, v35
	v_fma_f16 v53, v72, v53, -v45
	v_add_f16_e32 v23, v42, v35
	s_waitcnt lgkmcnt(0)
	v_add_f16_e32 v42, v47, v42
	v_add_f16_e32 v48, v88, v26
	v_fmamk_f16 v45, v39, 0xbaee, v16
	v_fmac_f16_e32 v16, 0x3aee, v39
	v_add_f16_e32 v39, v43, v27
	v_fmac_f16_e32 v47, -0.5, v23
	v_add_f16_e32 v23, v28, v90
	v_sub_f16_e32 v28, v86, v90
	v_add_f16_e32 v60, v41, v43
	v_fmac_f16_e32 v41, -0.5, v39
	v_sub_f16_e32 v39, v88, v26
	v_add_f16_e32 v35, v42, v35
	v_fmamk_f16 v42, v28, 0x3aee, v47
	v_add_f16_e32 v65, v84, v88
	v_fmac_f16_e32 v84, -0.5, v48
	v_sub_f16_e32 v43, v43, v27
	v_fmac_f16_e32 v47, 0xbaee, v28
	v_fmamk_f16 v28, v39, 0x3aee, v41
	v_fmac_f16_e32 v41, 0xbaee, v39
	ds_read_u16 v50, v25 offset:288
	ds_read_u16 v59, v25 offset:576
	v_add_f16_e32 v26, v65, v26
	v_fmamk_f16 v39, v43, 0xbaee, v84
	v_fmac_f16_e32 v84, 0x3aee, v43
	v_mul_f16_e32 v43, 0xbaee, v28
	v_mul_f16_e32 v28, 0.5, v28
	v_mul_f16_e32 v65, -0.5, v41
	v_add_f16_e32 v27, v60, v27
	v_add_f16_e32 v60, v23, v26
	v_fmac_f16_e32 v43, 0.5, v39
	v_fmac_f16_e32 v28, 0x3aee, v39
	v_fmac_f16_e32 v65, 0x3aee, v84
	v_sub_f16_e32 v23, v23, v26
	v_add_f16_e32 v39, v35, v27
	v_sub_f16_e32 v26, v35, v27
	v_add_f16_e32 v35, v94, v37
	v_mul_f16_e32 v48, 0xbaee, v41
	v_add_f16_e32 v68, v45, v43
	v_sub_f16_e32 v43, v45, v43
	v_add_f16_e32 v41, v42, v28
	v_sub_f16_e32 v27, v42, v28
	;; [unrolled: 2-line block ×3, first 2 shown]
	v_add_f16_e32 v42, v31, v32
	v_add_f16_e32 v47, v10, v94
	v_fmac_f16_e32 v10, -0.5, v35
	v_sub_f16_e32 v35, v31, v32
	v_fmac_f16_e32 v48, -0.5, v84
	s_waitcnt lgkmcnt(1)
	v_add_f16_e32 v31, v50, v31
	v_fmac_f16_e32 v50, -0.5, v42
	v_add_f16_e32 v42, v47, v37
	v_fmamk_f16 v47, v35, 0xbaee, v10
	v_fmac_f16_e32 v10, 0x3aee, v35
	v_add_f16_e32 v35, v40, v38
	v_add_f16_e32 v69, v16, v48
	v_sub_f16_e32 v16, v16, v48
	v_sub_f16_e32 v37, v94, v37
	v_add_f16_e32 v48, v63, v46
	v_add_f16_e32 v65, v44, v40
	v_fmac_f16_e32 v44, -0.5, v35
	v_sub_f16_e32 v35, v63, v46
	v_add_f16_e32 v31, v31, v32
	v_fmamk_f16 v32, v37, 0x3aee, v50
	v_add_f16_e32 v63, v92, v63
	v_fmac_f16_e32 v92, -0.5, v48
	v_sub_f16_e32 v40, v40, v38
	v_fmac_f16_e32 v50, 0xbaee, v37
	v_fmamk_f16 v37, v35, 0x3aee, v44
	v_fmac_f16_e32 v44, 0xbaee, v35
	v_add_f16_e32 v38, v65, v38
	v_fmamk_f16 v35, v40, 0xbaee, v92
	v_fmac_f16_e32 v92, 0x3aee, v40
	v_mul_f16_e32 v40, 0xbaee, v37
	v_mul_f16_e32 v48, 0xbaee, v44
	v_mul_f16_e32 v37, 0.5, v37
	v_add_f16_e32 v46, v63, v46
	v_mul_f16_e32 v44, -0.5, v44
	v_fmac_f16_e32 v40, 0.5, v35
	v_fmac_f16_e32 v48, -0.5, v92
	v_fmac_f16_e32 v37, 0x3aee, v35
	v_add_f16_e32 v35, v42, v46
	v_sub_f16_e32 v42, v42, v46
	v_add_f16_e32 v63, v47, v40
	v_sub_f16_e32 v40, v47, v40
	;; [unrolled: 2-line block ×4, first 2 shown]
	v_add_f16_e32 v31, v61, v49
	v_add_f16_e32 v48, v32, v37
	v_sub_f16_e32 v46, v32, v37
	v_add_f16_e32 v37, v2, v61
	v_add_f16_e32 v32, v29, v52
	v_fmac_f16_e32 v2, -0.5, v31
	v_sub_f16_e32 v31, v29, v52
	s_waitcnt lgkmcnt(0)
	v_add_f16_e32 v29, v59, v29
	v_fmac_f16_e32 v44, 0x3aee, v92
	v_fmac_f16_e32 v59, -0.5, v32
	v_add_f16_e32 v32, v37, v49
	v_fmamk_f16 v38, v31, 0xbaee, v2
	v_fmac_f16_e32 v2, 0x3aee, v31
	v_add_f16_e32 v31, v34, v58
	v_sub_f16_e32 v37, v61, v49
	v_add_f16_e32 v29, v29, v52
	v_add_f16_e32 v49, v62, v36
	;; [unrolled: 1-line block ×3, first 2 shown]
	v_fmac_f16_e32 v33, -0.5, v31
	v_sub_f16_e32 v31, v62, v36
	v_add_f16_e32 v71, v50, v44
	v_sub_f16_e32 v50, v50, v44
	v_fmamk_f16 v44, v37, 0x3aee, v59
	v_add_f16_e32 v61, v64, v62
	v_fmac_f16_e32 v64, -0.5, v49
	v_sub_f16_e32 v34, v34, v58
	v_fmac_f16_e32 v59, 0xbaee, v37
	v_fmamk_f16 v37, v31, 0x3aee, v33
	v_fmac_f16_e32 v33, 0xbaee, v31
	v_add_f16_e32 v36, v61, v36
	v_fmamk_f16 v31, v34, 0xbaee, v64
	v_fmac_f16_e32 v64, 0x3aee, v34
	v_mul_f16_e32 v34, 0xbaee, v37
	v_mul_f16_e32 v49, 0xbaee, v33
	v_mul_f16_e32 v37, 0.5, v37
	v_mul_f16_e32 v33, -0.5, v33
	v_add_f16_e32 v52, v52, v58
	v_fmac_f16_e32 v34, 0.5, v31
	v_fmac_f16_e32 v49, -0.5, v64
	v_fmac_f16_e32 v37, 0x3aee, v31
	v_fmac_f16_e32 v33, 0x3aee, v64
	v_add_f16_e32 v31, v32, v36
	v_sub_f16_e32 v32, v32, v36
	v_add_f16_e32 v36, v38, v34
	v_sub_f16_e32 v34, v38, v34
	;; [unrolled: 2-line block ×3, first 2 shown]
	v_add_f16_e32 v2, v66, v67
	v_add_f16_e32 v64, v59, v33
	v_sub_f16_e32 v59, v59, v33
	v_add_f16_e32 v33, v6, v66
	v_add_f16_e32 v58, v29, v52
	v_fmac_f16_e32 v6, -0.5, v2
	v_sub_f16_e32 v2, v54, v56
	v_sub_f16_e32 v52, v29, v52
	v_add_f16_e32 v61, v44, v37
	v_sub_f16_e32 v62, v44, v37
	v_add_f16_e32 v29, v54, v56
	v_add_f16_e32 v37, v17, v54
	v_fmamk_f16 v44, v2, 0xbaee, v6
	v_fmac_f16_e32 v6, 0x3aee, v2
	v_add_f16_e32 v2, v55, v22
	v_fmac_f16_e32 v17, -0.5, v29
	v_add_f16_e32 v29, v33, v67
	v_sub_f16_e32 v33, v66, v67
	v_add_f16_e32 v37, v37, v56
	v_add_f16_e32 v56, v30, v57
	;; [unrolled: 1-line block ×3, first 2 shown]
	v_fmac_f16_e32 v53, -0.5, v2
	v_sub_f16_e32 v2, v30, v57
	v_fmamk_f16 v54, v33, 0x3aee, v17
	v_add_f16_e32 v30, v51, v30
	v_fmac_f16_e32 v51, -0.5, v56
	v_sub_f16_e32 v55, v55, v22
	v_fmac_f16_e32 v17, 0xbaee, v33
	v_fmamk_f16 v33, v2, 0x3aee, v53
	v_fmac_f16_e32 v53, 0xbaee, v2
	v_add_f16_e32 v30, v30, v57
	v_fmamk_f16 v2, v55, 0xbaee, v51
	v_fmac_f16_e32 v51, 0x3aee, v55
	v_mul_f16_e32 v55, 0xbaee, v33
	v_mul_f16_e32 v33, 0.5, v33
	v_mov_b32_e32 v57, 0x48
	v_mul_f16_e32 v56, 0xbaee, v53
	v_mul_f16_e32 v53, -0.5, v53
	v_fmac_f16_e32 v55, 0.5, v2
	v_fmac_f16_e32 v33, 0x3aee, v2
	v_mov_b32_e32 v2, 1
	v_mul_u32_u24_sdwa v7, v7, v57 dst_sel:DWORD dst_unused:UNUSED_PAD src0_sel:WORD_0 src1_sel:DWORD
	v_fmac_f16_e32 v56, -0.5, v51
	v_add_f16_e32 v22, v66, v22
	v_fmac_f16_e32 v53, 0x3aee, v51
	v_lshlrev_b32_sdwa v9, v2, v9 dst_sel:DWORD dst_unused:UNUSED_PAD src0_sel:DWORD src1_sel:BYTE_0
	v_add_f16_e32 v51, v29, v30
	v_sub_f16_e32 v29, v29, v30
	v_add_f16_e32 v30, v44, v55
	v_sub_f16_e32 v44, v44, v55
	v_add3_u32 v67, 0, v7, v9
	v_mul_u32_u24_e32 v7, 0x48, v8
	v_lshlrev_b32_sdwa v8, v2, v12 dst_sel:DWORD dst_unused:UNUSED_PAD src0_sel:DWORD src1_sel:WORD_0
	v_lshlrev_b32_sdwa v9, v2, v13 dst_sel:DWORD dst_unused:UNUSED_PAD src0_sel:DWORD src1_sel:WORD_0
	v_add_f16_e32 v55, v6, v56
	v_sub_f16_e32 v6, v6, v56
	v_add_f16_e32 v56, v37, v22
	v_add3_u32 v8, 0, v7, v8
	v_mul_u32_u24_e32 v7, 0x48, v11
	v_sub_f16_e32 v57, v37, v22
	v_add_f16_e32 v66, v54, v33
	v_sub_f16_e32 v54, v54, v33
	v_add_f16_e32 v72, v17, v53
	v_add3_u32 v12, 0, v7, v9
	v_mul_u32_u24_e32 v7, 0x48, v14
	v_lshlrev_b32_sdwa v9, v2, v15 dst_sel:DWORD dst_unused:UNUSED_PAD src0_sel:DWORD src1_sel:WORD_0
	v_sub_f16_e32 v53, v17, v53
	s_barrier
	buffer_gl0_inv
	v_add3_u32 v13, 0, v7, v9
	ds_write_b16 v67, v60
	ds_write_b16 v67, v68 offset:12
	ds_write_b16 v67, v69 offset:24
	ds_write_b16 v67, v23 offset:36
	ds_write_b16 v67, v43 offset:48
	ds_write_b16 v67, v16 offset:60
	ds_write_b16 v8, v35
	ds_write_b16 v8, v63 offset:12
	ds_write_b16 v8, v65 offset:24
	ds_write_b16 v8, v42 offset:36
	ds_write_b16 v8, v40 offset:48
	ds_write_b16 v8, v70 offset:60
	;; [unrolled: 6-line block ×4, first 2 shown]
	s_waitcnt lgkmcnt(0)
	s_barrier
	buffer_gl0_inv
	ds_read_u16 v11, v25
	ds_read_u16 v9, v25 offset:288
	ds_read_u16 v7, v25 offset:576
	;; [unrolled: 1-line block ×23, first 2 shown]
	s_waitcnt lgkmcnt(0)
	s_barrier
	buffer_gl0_inv
	ds_write_b16 v67, v39
	ds_write_b16 v67, v41 offset:12
	ds_write_b16 v67, v45 offset:24
	;; [unrolled: 1-line block ×5, first 2 shown]
	ds_write_b16 v8, v47
	ds_write_b16 v8, v48 offset:12
	ds_write_b16 v8, v71 offset:24
	;; [unrolled: 1-line block ×4, first 2 shown]
	v_mul_lo_u16 v10, v5, 36
	ds_write_b16 v8, v50 offset:60
	ds_write_b16 v12, v58
	ds_write_b16 v12, v61 offset:12
	ds_write_b16 v12, v64 offset:24
	v_mov_b32_e32 v14, 0xe38f
	ds_write_b16 v12, v52 offset:36
	ds_write_b16 v12, v62 offset:48
	;; [unrolled: 1-line block ×3, first 2 shown]
	ds_write_b16 v13, v56
	ds_write_b16 v13, v66 offset:12
	ds_write_b16 v13, v72 offset:24
	v_sub_nc_u16 v8, v24, v10
	ds_write_b16 v13, v57 offset:36
	ds_write_b16 v13, v54 offset:48
	v_mul_u32_u24_sdwa v15, v4, v14 dst_sel:DWORD dst_unused:UNUSED_PAD src0_sel:WORD_0 src1_sel:DWORD
	ds_write_b16 v13, v53 offset:60
	s_waitcnt lgkmcnt(0)
	v_mul_u32_u24_sdwa v10, v8, v3 dst_sel:DWORD dst_unused:UNUSED_PAD src0_sel:BYTE_0 src1_sel:DWORD
	s_barrier
	buffer_gl0_inv
	v_lshlrev_b32_sdwa v8, v2, v8 dst_sel:DWORD dst_unused:UNUSED_PAD src0_sel:DWORD src1_sel:BYTE_0
	v_lshlrev_b32_e32 v26, 2, v10
	v_mul_u32_u24_sdwa v10, v0, v14 dst_sel:DWORD dst_unused:UNUSED_PAD src0_sel:WORD_0 src1_sel:DWORD
	v_mul_u32_u24_sdwa v14, v1, v14 dst_sel:DWORD dst_unused:UNUSED_PAD src0_sel:WORD_0 src1_sel:DWORD
	global_load_dwordx4 v[45:48], v26, s[12:13] offset:120
	v_lshrrev_b32_e32 v10, 21, v10
	v_lshrrev_b32_e32 v14, 21, v14
	v_mul_lo_u16 v12, v10, 36
	v_sub_nc_u16 v13, v0, v12
	v_lshrrev_b32_e32 v12, 21, v15
	v_mul_u32_u24_sdwa v15, v13, v3 dst_sel:DWORD dst_unused:UNUSED_PAD src0_sel:WORD_0 src1_sel:DWORD
	v_mul_lo_u16 v27, v12, 36
	v_lshlrev_b32_e32 v28, 2, v15
	v_sub_nc_u16 v4, v4, v27
	global_load_dwordx4 v[50:53], v28, s[12:13] offset:120
	v_mul_u32_u24_sdwa v15, v4, v3 dst_sel:DWORD dst_unused:UNUSED_PAD src0_sel:WORD_0 src1_sel:DWORD
	v_lshlrev_b32_sdwa v4, v2, v4 dst_sel:DWORD dst_unused:UNUSED_PAD src0_sel:DWORD src1_sel:WORD_0
	v_lshlrev_b32_e32 v27, 2, v15
	v_mul_lo_u16 v15, v14, 36
	global_load_dwordx4 v[54:57], v27, s[12:13] offset:120
	v_sub_nc_u16 v15, v1, v15
	v_mul_u32_u24_sdwa v3, v15, v3 dst_sel:DWORD dst_unused:UNUSED_PAD src0_sel:WORD_0 src1_sel:DWORD
	v_lshlrev_b32_e32 v3, 2, v3
	s_clause 0x4
	global_load_dwordx4 v[58:61], v3, s[12:13] offset:120
	global_load_dword v26, v26, s[12:13] offset:136
	global_load_dword v28, v28, s[12:13] offset:136
	;; [unrolled: 1-line block ×4, first 2 shown]
	ds_read_u16 v41, v25 offset:1152
	ds_read_u16 v62, v25 offset:2304
	;; [unrolled: 1-line block ×21, first 2 shown]
	s_waitcnt vmcnt(7) lgkmcnt(20)
	v_mul_f16_sdwa v71, v41, v45 dst_sel:DWORD dst_unused:UNUSED_PAD src0_sel:DWORD src1_sel:WORD_1
	v_mul_f16_sdwa v72, v63, v45 dst_sel:DWORD dst_unused:UNUSED_PAD src0_sel:DWORD src1_sel:WORD_1
	;; [unrolled: 1-line block ×3, first 2 shown]
	s_waitcnt lgkmcnt(15)
	v_mul_f16_sdwa v85, v67, v48 dst_sel:DWORD dst_unused:UNUSED_PAD src0_sel:DWORD src1_sel:WORD_1
	v_fmac_f16_e32 v71, v63, v45
	v_fma_f16 v41, v41, v45, -v72
	v_mul_f16_sdwa v45, v62, v46 dst_sel:DWORD dst_unused:UNUSED_PAD src0_sel:DWORD src1_sel:WORD_1
	v_mul_f16_sdwa v63, v42, v46 dst_sel:DWORD dst_unused:UNUSED_PAD src0_sel:DWORD src1_sel:WORD_1
	;; [unrolled: 1-line block ×3, first 2 shown]
	v_fmac_f16_e32 v85, v40, v48
	v_mul_f16_sdwa v40, v40, v48 dst_sel:DWORD dst_unused:UNUSED_PAD src0_sel:DWORD src1_sel:WORD_1
	v_fmac_f16_e32 v45, v42, v46
	v_fma_f16 v42, v62, v46, -v63
	v_fmac_f16_e32 v72, v49, v47
	v_fma_f16 v46, v64, v47, -v82
	v_fma_f16 v40, v67, v48, -v40
	v_add_f16_e32 v67, v71, v72
	v_sub_f16_e32 v64, v42, v40
	s_waitcnt vmcnt(6) lgkmcnt(14)
	v_mul_f16_sdwa v47, v68, v50 dst_sel:DWORD dst_unused:UNUSED_PAD src0_sel:DWORD src1_sel:WORD_1
	v_mul_f16_sdwa v49, v44, v50 dst_sel:DWORD dst_unused:UNUSED_PAD src0_sel:DWORD src1_sel:WORD_1
	;; [unrolled: 1-line block ×4, first 2 shown]
	s_waitcnt lgkmcnt(10)
	v_mul_f16_sdwa v48, v73, v52 dst_sel:DWORD dst_unused:UNUSED_PAD src0_sel:DWORD src1_sel:WORD_1
	v_fmac_f16_e32 v47, v44, v50
	v_fma_f16 v44, v68, v50, -v49
	v_fmac_f16_e32 v62, v38, v51
	v_fma_f16 v38, v65, v51, -v63
	v_mul_f16_sdwa v49, v43, v52 dst_sel:DWORD dst_unused:UNUSED_PAD src0_sel:DWORD src1_sel:WORD_1
	s_waitcnt lgkmcnt(4)
	v_mul_f16_sdwa v50, v79, v53 dst_sel:DWORD dst_unused:UNUSED_PAD src0_sel:DWORD src1_sel:WORD_1
	v_mul_f16_sdwa v51, v35, v53 dst_sel:DWORD dst_unused:UNUSED_PAD src0_sel:DWORD src1_sel:WORD_1
	s_waitcnt vmcnt(5)
	v_mul_f16_sdwa v63, v69, v54 dst_sel:DWORD dst_unused:UNUSED_PAD src0_sel:DWORD src1_sel:WORD_1
	v_fmac_f16_e32 v48, v43, v52
	v_fma_f16 v43, v73, v52, -v49
	v_fmac_f16_e32 v50, v35, v53
	v_fma_f16 v35, v79, v53, -v51
	v_fmac_f16_e32 v63, v36, v54
	v_mul_f16_sdwa v36, v36, v54 dst_sel:DWORD dst_unused:UNUSED_PAD src0_sel:DWORD src1_sel:WORD_1
	v_mul_f16_sdwa v49, v66, v55 dst_sel:DWORD dst_unused:UNUSED_PAD src0_sel:DWORD src1_sel:WORD_1
	;; [unrolled: 1-line block ×5, first 2 shown]
	v_fma_f16 v36, v69, v54, -v36
	v_fmac_f16_e32 v49, v32, v55
	v_fma_f16 v32, v66, v55, -v51
	v_fmac_f16_e32 v52, v37, v56
	v_fma_f16 v37, v74, v56, -v53
	s_waitcnt lgkmcnt(3)
	v_mul_f16_sdwa v51, v80, v57 dst_sel:DWORD dst_unused:UNUSED_PAD src0_sel:DWORD src1_sel:WORD_1
	v_mul_f16_sdwa v53, v29, v57 dst_sel:DWORD dst_unused:UNUSED_PAD src0_sel:DWORD src1_sel:WORD_1
	s_waitcnt vmcnt(4)
	v_mul_f16_sdwa v54, v70, v58 dst_sel:DWORD dst_unused:UNUSED_PAD src0_sel:DWORD src1_sel:WORD_1
	v_mul_f16_sdwa v55, v31, v58 dst_sel:DWORD dst_unused:UNUSED_PAD src0_sel:DWORD src1_sel:WORD_1
	;; [unrolled: 1-line block ×3, first 2 shown]
	v_fmac_f16_e32 v51, v29, v57
	v_fma_f16 v29, v80, v57, -v53
	v_fmac_f16_e32 v54, v31, v58
	v_fma_f16 v31, v70, v58, -v55
	v_fmac_f16_e32 v56, v34, v59
	v_mul_f16_sdwa v34, v34, v59 dst_sel:DWORD dst_unused:UNUSED_PAD src0_sel:DWORD src1_sel:WORD_1
	s_waitcnt lgkmcnt(2)
	v_mul_f16_sdwa v57, v81, v61 dst_sel:DWORD dst_unused:UNUSED_PAD src0_sel:DWORD src1_sel:WORD_1
	v_mul_f16_sdwa v58, v33, v61 dst_sel:DWORD dst_unused:UNUSED_PAD src0_sel:DWORD src1_sel:WORD_1
	v_mul_f16_sdwa v53, v75, v60 dst_sel:DWORD dst_unused:UNUSED_PAD src0_sel:DWORD src1_sel:WORD_1
	v_mul_f16_sdwa v55, v30, v60 dst_sel:DWORD dst_unused:UNUSED_PAD src0_sel:DWORD src1_sel:WORD_1
	v_fma_f16 v34, v76, v59, -v34
	v_fmac_f16_e32 v57, v33, v61
	v_fma_f16 v33, v81, v61, -v58
	s_waitcnt vmcnt(2) lgkmcnt(1)
	v_mul_f16_sdwa v59, v83, v28 dst_sel:DWORD dst_unused:UNUSED_PAD src0_sel:DWORD src1_sel:WORD_1
	ds_read_u16 v61, v25
	v_fmac_f16_e32 v53, v30, v60
	v_fma_f16 v30, v75, v60, -v55
	s_waitcnt lgkmcnt(1)
	v_mul_f16_sdwa v55, v84, v26 dst_sel:DWORD dst_unused:UNUSED_PAD src0_sel:DWORD src1_sel:WORD_1
	v_mul_f16_sdwa v58, v23, v26 dst_sel:DWORD dst_unused:UNUSED_PAD src0_sel:DWORD src1_sel:WORD_1
	;; [unrolled: 1-line block ×3, first 2 shown]
	v_fmac_f16_e32 v59, v22, v28
	s_waitcnt vmcnt(1)
	v_mul_f16_sdwa v22, v77, v27 dst_sel:DWORD dst_unused:UNUSED_PAD src0_sel:DWORD src1_sel:WORD_1
	v_fmac_f16_e32 v55, v23, v26
	v_fma_f16 v23, v84, v26, -v58
	v_fma_f16 v26, v83, v28, -v60
	v_mul_f16_sdwa v28, v17, v27 dst_sel:DWORD dst_unused:UNUSED_PAD src0_sel:DWORD src1_sel:WORD_1
	v_fmac_f16_e32 v22, v17, v27
	v_add_f16_e32 v17, v45, v85
	v_add_f16_e32 v65, v72, v55
	;; [unrolled: 1-line block ×3, first 2 shown]
	v_fma_f16 v27, v77, v27, -v28
	v_add_f16_e32 v28, v11, v45
	v_fmac_f16_e32 v11, -0.5, v17
	v_add_f16_e32 v17, v42, v40
	s_waitcnt lgkmcnt(0)
	v_add_f16_e32 v42, v61, v42
	v_fmac_f16_e32 v71, -0.5, v65
	s_waitcnt vmcnt(0)
	v_mul_f16_sdwa v58, v78, v39 dst_sel:DWORD dst_unused:UNUSED_PAD src0_sel:DWORD src1_sel:WORD_1
	v_mul_f16_sdwa v60, v16, v39 dst_sel:DWORD dst_unused:UNUSED_PAD src0_sel:DWORD src1_sel:WORD_1
	v_fmac_f16_e32 v61, -0.5, v17
	v_add_f16_e32 v17, v28, v85
	v_sub_f16_e32 v28, v45, v85
	v_fmamk_f16 v45, v64, 0xbaee, v11
	v_fmac_f16_e32 v11, 0x3aee, v64
	v_add_f16_e32 v64, v46, v23
	v_add_f16_e32 v40, v42, v40
	v_fmamk_f16 v42, v28, 0x3aee, v61
	v_sub_f16_e32 v46, v46, v23
	v_fmac_f16_e32 v61, 0xbaee, v28
	v_fmac_f16_e32 v41, -0.5, v64
	v_sub_f16_e32 v64, v72, v55
	v_fmac_f16_e32 v58, v16, v39
	v_fma_f16 v16, v78, v39, -v60
	ds_read_u16 v39, v25 offset:288
	ds_read_u16 v60, v25 offset:576
	v_add_f16_e32 v55, v67, v55
	v_fmamk_f16 v28, v64, 0x3aee, v41
	v_fmac_f16_e32 v41, 0xbaee, v64
	v_fmamk_f16 v64, v46, 0xbaee, v71
	v_fmac_f16_e32 v71, 0x3aee, v46
	v_add_f16_e32 v23, v66, v23
	v_mul_f16_e32 v46, 0xbaee, v28
	v_mul_f16_e32 v28, 0.5, v28
	v_mul_f16_e32 v65, 0xbaee, v41
	v_mul_f16_e32 v41, -0.5, v41
	v_add_f16_e32 v67, v9, v62
	v_fmac_f16_e32 v46, 0.5, v64
	v_fmac_f16_e32 v28, 0x3aee, v64
	v_fmac_f16_e32 v65, -0.5, v71
	v_fmac_f16_e32 v41, 0x3aee, v71
	v_add_f16_e32 v64, v17, v55
	v_sub_f16_e32 v17, v17, v55
	v_add_f16_e32 v55, v45, v46
	v_sub_f16_e32 v45, v45, v46
	;; [unrolled: 2-line block ×5, first 2 shown]
	v_add_f16_e32 v28, v62, v50
	v_add_f16_e32 v66, v61, v41
	v_sub_f16_e32 v41, v61, v41
	v_add_f16_e32 v61, v38, v35
	v_add_f16_e32 v68, v44, v43
	v_fmac_f16_e32 v9, -0.5, v28
	v_sub_f16_e32 v28, v38, v35
	s_waitcnt lgkmcnt(1)
	v_add_f16_e32 v38, v39, v38
	v_fmac_f16_e32 v39, -0.5, v61
	v_add_f16_e32 v61, v67, v50
	v_sub_f16_e32 v50, v62, v50
	v_fmamk_f16 v62, v28, 0xbaee, v9
	v_fmac_f16_e32 v9, 0x3aee, v28
	v_add_f16_e32 v28, v43, v26
	v_add_f16_e32 v67, v48, v59
	;; [unrolled: 1-line block ×3, first 2 shown]
	v_fmamk_f16 v38, v50, 0x3aee, v39
	v_sub_f16_e32 v43, v43, v26
	v_fmac_f16_e32 v44, -0.5, v28
	v_sub_f16_e32 v28, v48, v59
	v_add_f16_e32 v48, v47, v48
	v_fmac_f16_e32 v47, -0.5, v67
	v_fmac_f16_e32 v39, 0xbaee, v50
	v_add_f16_e32 v26, v68, v26
	v_fmamk_f16 v50, v28, 0x3aee, v44
	v_fmac_f16_e32 v44, 0xbaee, v28
	v_add_f16_e32 v48, v48, v59
	v_fmamk_f16 v28, v43, 0xbaee, v47
	v_fmac_f16_e32 v47, 0x3aee, v43
	v_mul_f16_e32 v43, 0xbaee, v50
	v_mul_f16_e32 v59, 0xbaee, v44
	v_mul_f16_e32 v50, 0.5, v50
	v_mul_f16_e32 v44, -0.5, v44
	v_add_f16_e32 v68, v36, v37
	v_fmac_f16_e32 v43, 0.5, v28
	v_fmac_f16_e32 v59, -0.5, v47
	v_fmac_f16_e32 v50, 0x3aee, v28
	v_fmac_f16_e32 v44, 0x3aee, v47
	v_add_f16_e32 v28, v61, v48
	v_sub_f16_e32 v47, v61, v48
	v_add_f16_e32 v48, v62, v43
	v_sub_f16_e32 v43, v62, v43
	;; [unrolled: 2-line block ×4, first 2 shown]
	v_add_f16_e32 v26, v49, v51
	v_add_f16_e32 v67, v38, v50
	v_sub_f16_e32 v38, v38, v50
	v_add_f16_e32 v50, v39, v44
	v_sub_f16_e32 v39, v39, v44
	v_add_f16_e32 v35, v32, v29
	v_add_f16_e32 v44, v7, v49
	v_fmac_f16_e32 v7, -0.5, v26
	v_sub_f16_e32 v26, v32, v29
	s_waitcnt lgkmcnt(0)
	v_add_f16_e32 v32, v60, v32
	v_fmac_f16_e32 v60, -0.5, v35
	v_add_f16_e32 v35, v44, v51
	v_sub_f16_e32 v44, v49, v51
	v_fmamk_f16 v49, v26, 0xbaee, v7
	v_fmac_f16_e32 v7, 0x3aee, v26
	v_add_f16_e32 v26, v37, v27
	v_add_f16_e32 v51, v52, v22
	;; [unrolled: 1-line block ×3, first 2 shown]
	v_fmamk_f16 v32, v44, 0x3aee, v60
	v_sub_f16_e32 v37, v37, v27
	v_fmac_f16_e32 v36, -0.5, v26
	v_sub_f16_e32 v26, v52, v22
	v_add_f16_e32 v52, v63, v52
	v_fmac_f16_e32 v63, -0.5, v51
	v_fmac_f16_e32 v60, 0xbaee, v44
	v_add_f16_e32 v27, v68, v27
	v_fmamk_f16 v44, v26, 0x3aee, v36
	v_fmac_f16_e32 v36, 0xbaee, v26
	v_fmamk_f16 v26, v37, 0xbaee, v63
	v_fmac_f16_e32 v63, 0x3aee, v37
	v_add_f16_e32 v22, v52, v22
	v_mul_f16_e32 v37, 0xbaee, v44
	v_mul_f16_e32 v51, 0xbaee, v36
	v_mul_f16_e32 v44, 0.5, v44
	v_mul_f16_e32 v36, -0.5, v36
	v_sub_f16_e32 v52, v29, v27
	v_fmac_f16_e32 v37, 0.5, v26
	v_fmac_f16_e32 v51, -0.5, v63
	v_fmac_f16_e32 v44, 0x3aee, v26
	v_add_f16_e32 v26, v35, v22
	v_sub_f16_e32 v22, v35, v22
	v_add_f16_e32 v35, v49, v37
	v_sub_f16_e32 v37, v49, v37
	;; [unrolled: 2-line block ×3, first 2 shown]
	v_add_f16_e32 v51, v29, v27
	v_add_f16_e32 v27, v56, v57
	v_fmac_f16_e32 v36, 0x3aee, v63
	v_add_f16_e32 v63, v32, v44
	v_sub_f16_e32 v44, v32, v44
	v_add_f16_e32 v32, v6, v56
	v_fmac_f16_e32 v6, -0.5, v27
	v_sub_f16_e32 v27, v34, v33
	v_add_f16_e32 v68, v60, v36
	v_sub_f16_e32 v60, v60, v36
	v_add_f16_e32 v29, v34, v33
	v_add_f16_e32 v34, v3, v34
	v_fmamk_f16 v36, v27, 0xbaee, v6
	v_fmac_f16_e32 v6, 0x3aee, v27
	v_add_f16_e32 v27, v30, v16
	v_fmac_f16_e32 v3, -0.5, v29
	v_add_f16_e32 v29, v32, v57
	v_sub_f16_e32 v32, v56, v57
	v_add_f16_e32 v56, v53, v58
	v_add_f16_e32 v57, v31, v30
	v_fmac_f16_e32 v31, -0.5, v27
	v_sub_f16_e32 v27, v53, v58
	v_add_f16_e32 v33, v34, v33
	v_fmamk_f16 v34, v32, 0x3aee, v3
	v_add_f16_e32 v53, v54, v53
	v_fmac_f16_e32 v54, -0.5, v56
	v_sub_f16_e32 v30, v30, v16
	v_fmac_f16_e32 v3, 0xbaee, v32
	v_fmamk_f16 v32, v27, 0x3aee, v31
	v_fmac_f16_e32 v31, 0xbaee, v27
	v_add_f16_e32 v53, v53, v58
	v_fmamk_f16 v27, v30, 0xbaee, v54
	v_fmac_f16_e32 v54, 0x3aee, v30
	v_mul_f16_e32 v30, 0xbaee, v32
	v_mul_f16_e32 v32, 0.5, v32
	v_mul_f16_e32 v56, 0xbaee, v31
	v_mul_f16_e32 v31, -0.5, v31
	v_fmac_f16_e32 v30, 0.5, v27
	v_fmac_f16_e32 v32, 0x3aee, v27
	v_add_f16_e32 v27, v29, v53
	v_sub_f16_e32 v29, v29, v53
	v_fmac_f16_e32 v31, 0x3aee, v54
	v_add_f16_e32 v53, v36, v30
	v_sub_f16_e32 v30, v36, v30
	v_mov_b32_e32 v36, 0x1b0
	s_barrier
	v_add_f16_e32 v70, v3, v31
	v_sub_f16_e32 v71, v3, v31
	buffer_gl0_inv
	v_mul_u32_u24_sdwa v5, v5, v36 dst_sel:DWORD dst_unused:UNUSED_PAD src0_sel:WORD_0 src1_sel:DWORD
	v_fmac_f16_e32 v56, -0.5, v54
	v_add_f16_e32 v16, v57, v16
	v_add_f16_e32 v58, v34, v32
	v_sub_f16_e32 v69, v34, v32
	v_add3_u32 v3, 0, v5, v8
	v_mul_u32_u24_e32 v5, 0x1b0, v10
	v_lshlrev_b32_sdwa v8, v2, v13 dst_sel:DWORD dst_unused:UNUSED_PAD src0_sel:DWORD src1_sel:WORD_0
	ds_write_b16 v3, v64
	ds_write_b16 v3, v55 offset:72
	ds_write_b16 v3, v46 offset:144
	ds_write_b16 v3, v17 offset:216
	ds_write_b16 v3, v45 offset:288
	ds_write_b16 v3, v11 offset:360
	v_add3_u32 v17, 0, v5, v8
	v_mul_u32_u24_e32 v5, 0x1b0, v12
	v_add_f16_e32 v54, v6, v56
	v_sub_f16_e32 v6, v6, v56
	v_add_f16_e32 v56, v33, v16
	v_sub_f16_e32 v57, v33, v16
	v_add3_u32 v11, 0, v5, v4
	v_mul_u32_u24_e32 v4, 0x1b0, v14
	v_lshlrev_b32_sdwa v5, v2, v15 dst_sel:DWORD dst_unused:UNUSED_PAD src0_sel:DWORD src1_sel:WORD_0
	ds_write_b16 v17, v28
	ds_write_b16 v17, v48 offset:72
	ds_write_b16 v17, v61 offset:144
	;; [unrolled: 1-line block ×5, first 2 shown]
	ds_write_b16 v11, v26
	ds_write_b16 v11, v35 offset:72
	v_lshl_add_u32 v26, v24, 1, 0
	v_add3_u32 v12, 0, v4, v5
	ds_write_b16 v11, v49 offset:144
	ds_write_b16 v11, v22 offset:216
	;; [unrolled: 1-line block ×4, first 2 shown]
	ds_write_b16 v12, v27
	ds_write_b16 v12, v53 offset:72
	ds_write_b16 v12, v54 offset:144
	ds_write_b16 v12, v29 offset:216
	ds_write_b16 v12, v30 offset:288
	ds_write_b16 v12, v6 offset:360
	s_waitcnt lgkmcnt(0)
	s_barrier
	buffer_gl0_inv
	ds_read_u16 v28, v25 offset:2304
	ds_read_u16 v10, v25
	ds_read_u16 v8, v25 offset:288
	ds_read_u16 v7, v25 offset:576
	;; [unrolled: 1-line block ×22, first 2 shown]
	s_waitcnt lgkmcnt(0)
	s_barrier
	buffer_gl0_inv
	ds_write_b16 v3, v65
	ds_write_b16 v3, v40 offset:72
	ds_write_b16 v3, v66 offset:144
	ds_write_b16 v3, v23 offset:216
	ds_write_b16 v3, v42 offset:288
	ds_write_b16 v3, v41 offset:360
	ds_write_b16 v17, v59
	ds_write_b16 v17, v67 offset:72
	ds_write_b16 v17, v50 offset:144
	ds_write_b16 v17, v62 offset:216
	ds_write_b16 v17, v38 offset:288
	ds_write_b16 v17, v39 offset:360
	;; [unrolled: 6-line block ×3, first 2 shown]
	ds_write_b16 v12, v56
	v_add_nc_u32_e32 v11, 0xffffffb8, v24
	v_mov_b32_e32 v17, 0x12f7
	v_mov_b32_e32 v23, 0
	v_mul_u32_u24_e32 v3, 3, v24
	ds_write_b16 v12, v58 offset:72
	ds_write_b16 v12, v70 offset:144
	;; [unrolled: 1-line block ×4, first 2 shown]
	v_cndmask_b32_e64 v11, v11, v0, s0
	v_lshrrev_b16 v0, 3, v1
	ds_write_b16 v12, v71 offset:360
	v_lshlrev_b32_e32 v3, 2, v3
	s_waitcnt lgkmcnt(0)
	v_mul_i32_i24_e32 v22, 3, v11
	v_mul_u32_u24_sdwa v0, v0, v17 dst_sel:DWORD dst_unused:UNUSED_PAD src0_sel:WORD_0 src1_sel:DWORD
	s_barrier
	buffer_gl0_inv
	global_load_dwordx3 v[37:39], v3, s[12:13] offset:840
	v_lshlrev_b64 v[40:41], 2, v[22:23]
	v_lshrrev_b32_e32 v0, 17, v0
	v_add_nc_u16 v22, v24, 0x240
	v_mov_b32_e32 v49, 3
	v_lshlrev_b32_e32 v11, 1, v11
	v_add_co_u32 v40, s0, s12, v40
	v_add_co_ci_u32_e64 v41, s0, s13, v41, s0
	v_mul_lo_u16 v12, 0xd8, v0
	v_lshrrev_b16 v43, 3, v22
	v_add_nc_u32_e32 v0, 0x2d0, v24
	global_load_dwordx3 v[40:42], v[40:41], off offset:840
	v_cmp_lt_u32_e64 s0, 0x47, v24
	v_sub_nc_u16 v1, v1, v12
	v_mul_u32_u24_sdwa v43, v43, v17 dst_sel:DWORD dst_unused:UNUSED_PAD src0_sel:WORD_0 src1_sel:DWORD
	v_lshrrev_b16 v44, 3, v0
	v_and_b32_e32 v12, 0xffff, v1
	v_lshrrev_b32_e32 v1, 17, v43
	v_mul_u32_u24_sdwa v17, v44, v17 dst_sel:DWORD dst_unused:UNUSED_PAD src0_sel:WORD_0 src1_sel:DWORD
	global_load_dwordx3 v[43:45], v3, s[12:13] offset:1704
	v_mul_u32_u24_e32 v46, 3, v12
	v_mul_lo_u16 v47, 0xd8, v1
	v_lshrrev_b32_e32 v17, 17, v17
	v_mul_u32_u24_e32 v1, 0x6c0, v1
	v_lshlrev_b32_e32 v46, 2, v46
	v_sub_nc_u16 v22, v22, v47
	v_mul_lo_u16 v17, 0xd8, v17
	global_load_dwordx3 v[46:48], v46, s[12:13] offset:840
	v_mul_u32_u24_sdwa v49, v22, v49 dst_sel:DWORD dst_unused:UNUSED_PAD src0_sel:WORD_0 src1_sel:DWORD
	v_sub_nc_u16 v17, v0, v17
	v_lshlrev_b32_sdwa v2, v2, v22 dst_sel:DWORD dst_unused:UNUSED_PAD src0_sel:DWORD src1_sel:WORD_0
	v_lshlrev_b32_e32 v49, 2, v49
	v_and_b32_e32 v17, 0xffff, v17
	v_add3_u32 v1, 0, v1, v2
	global_load_dwordx3 v[49:51], v49, s[12:13] offset:840
	v_mul_u32_u24_e32 v52, 3, v17
	v_lshl_add_u32 v2, v17, 1, 0
	v_lshlrev_b32_e32 v52, 2, v52
	global_load_dwordx3 v[52:54], v52, s[12:13] offset:840
	ds_read_u16 v56, v25 offset:1728
	ds_read_u16 v57, v25 offset:3456
	;; [unrolled: 1-line block ×12, first 2 shown]
	s_waitcnt vmcnt(5) lgkmcnt(11)
	v_mul_f16_sdwa v63, v56, v37 dst_sel:DWORD dst_unused:UNUSED_PAD src0_sel:DWORD src1_sel:WORD_1
	v_mul_f16_sdwa v70, v55, v37 dst_sel:DWORD dst_unused:UNUSED_PAD src0_sel:DWORD src1_sel:WORD_1
	;; [unrolled: 1-line block ×3, first 2 shown]
	s_waitcnt lgkmcnt(7)
	v_mul_f16_sdwa v77, v60, v39 dst_sel:DWORD dst_unused:UNUSED_PAD src0_sel:DWORD src1_sel:WORD_1
	v_mul_f16_sdwa v78, v64, v39 dst_sel:DWORD dst_unused:UNUSED_PAD src0_sel:DWORD src1_sel:WORD_1
	v_fmac_f16_e32 v63, v55, v37
	v_mul_f16_sdwa v55, v57, v38 dst_sel:DWORD dst_unused:UNUSED_PAD src0_sel:DWORD src1_sel:WORD_1
	v_fma_f16 v37, v56, v37, -v70
	ds_read_u16 v56, v25 offset:5760
	ds_read_u16 v70, v25 offset:6048
	;; [unrolled: 1-line block ×6, first 2 shown]
	v_fmac_f16_e32 v77, v64, v39
	v_fma_f16 v39, v60, v39, -v78
	v_fmac_f16_e32 v55, v61, v38
	ds_read_u16 v61, v25 offset:2592
	v_fma_f16 v38, v57, v38, -v71
	s_waitcnt vmcnt(4)
	v_mul_f16_sdwa v79, v58, v40 dst_sel:DWORD dst_unused:UNUSED_PAD src0_sel:DWORD src1_sel:WORD_1
	s_waitcnt lgkmcnt(12)
	v_mul_f16_sdwa v57, v65, v41 dst_sel:DWORD dst_unused:UNUSED_PAD src0_sel:DWORD src1_sel:WORD_1
	v_mul_f16_sdwa v60, v35, v41 dst_sel:DWORD dst_unused:UNUSED_PAD src0_sel:DWORD src1_sel:WORD_1
	s_waitcnt lgkmcnt(7)
	v_mul_f16_sdwa v64, v72, v42 dst_sel:DWORD dst_unused:UNUSED_PAD src0_sel:DWORD src1_sel:WORD_1
	v_mul_f16_sdwa v71, v36, v42 dst_sel:DWORD dst_unused:UNUSED_PAD src0_sel:DWORD src1_sel:WORD_1
	v_fmac_f16_e32 v79, v34, v40
	v_mul_f16_sdwa v34, v34, v40 dst_sel:DWORD dst_unused:UNUSED_PAD src0_sel:DWORD src1_sel:WORD_1
	v_fmac_f16_e32 v57, v35, v41
	v_fma_f16 v35, v65, v41, -v60
	v_fmac_f16_e32 v64, v36, v42
	s_waitcnt vmcnt(3)
	v_mul_f16_sdwa v41, v28, v43 dst_sel:DWORD dst_unused:UNUSED_PAD src0_sel:DWORD src1_sel:WORD_1
	v_fma_f16 v34, v58, v40, -v34
	ds_read_u16 v58, v25 offset:2880
	v_mul_f16_sdwa v40, v59, v43 dst_sel:DWORD dst_unused:UNUSED_PAD src0_sel:DWORD src1_sel:WORD_1
	v_fma_f16 v36, v72, v42, -v71
	v_mul_f16_sdwa v42, v66, v44 dst_sel:DWORD dst_unused:UNUSED_PAD src0_sel:DWORD src1_sel:WORD_1
	v_mul_f16_sdwa v60, v32, v44 dst_sel:DWORD dst_unused:UNUSED_PAD src0_sel:DWORD src1_sel:WORD_1
	v_fma_f16 v41, v59, v43, -v41
	v_fmac_f16_e32 v40, v28, v43
	s_waitcnt lgkmcnt(7)
	v_mul_f16_sdwa v28, v56, v45 dst_sel:DWORD dst_unused:UNUSED_PAD src0_sel:DWORD src1_sel:WORD_1
	v_mul_f16_sdwa v43, v33, v45 dst_sel:DWORD dst_unused:UNUSED_PAD src0_sel:DWORD src1_sel:WORD_1
	v_fmac_f16_e32 v42, v32, v44
	v_fma_f16 v32, v66, v44, -v60
	s_waitcnt vmcnt(2)
	v_mul_f16_sdwa v44, v29, v46 dst_sel:DWORD dst_unused:UNUSED_PAD src0_sel:DWORD src1_sel:WORD_1
	v_fmac_f16_e32 v28, v33, v45
	s_waitcnt lgkmcnt(1)
	v_mul_f16_sdwa v33, v61, v46 dst_sel:DWORD dst_unused:UNUSED_PAD src0_sel:DWORD src1_sel:WORD_1
	v_mul_f16_sdwa v59, v67, v47 dst_sel:DWORD dst_unused:UNUSED_PAD src0_sel:DWORD src1_sel:WORD_1
	v_fma_f16 v43, v56, v45, -v43
	v_mul_f16_sdwa v45, v30, v47 dst_sel:DWORD dst_unused:UNUSED_PAD src0_sel:DWORD src1_sel:WORD_1
	v_sub_f16_e32 v39, v37, v39
	v_fmac_f16_e32 v33, v29, v46
	v_fma_f16 v29, v61, v46, -v44
	v_fmac_f16_e32 v59, v30, v47
	v_mul_f16_sdwa v30, v70, v48 dst_sel:DWORD dst_unused:UNUSED_PAD src0_sel:DWORD src1_sel:WORD_1
	v_fma_f16 v44, v67, v47, -v45
	s_waitcnt vmcnt(1) lgkmcnt(0)
	v_mul_f16_sdwa v46, v58, v49 dst_sel:DWORD dst_unused:UNUSED_PAD src0_sel:DWORD src1_sel:WORD_1
	v_mul_f16_sdwa v47, v13, v49 dst_sel:DWORD dst_unused:UNUSED_PAD src0_sel:DWORD src1_sel:WORD_1
	;; [unrolled: 1-line block ×3, first 2 shown]
	v_fmac_f16_e32 v30, v31, v48
	v_mul_f16_sdwa v31, v68, v50 dst_sel:DWORD dst_unused:UNUSED_PAD src0_sel:DWORD src1_sel:WORD_1
	v_fmac_f16_e32 v46, v13, v49
	v_fma_f16 v13, v58, v49, -v47
	v_mul_f16_sdwa v47, v14, v50 dst_sel:DWORD dst_unused:UNUSED_PAD src0_sel:DWORD src1_sel:WORD_1
	v_fma_f16 v45, v70, v48, -v45
	v_fmac_f16_e32 v31, v14, v50
	v_mul_f16_sdwa v14, v73, v51 dst_sel:DWORD dst_unused:UNUSED_PAD src0_sel:DWORD src1_sel:WORD_1
	v_mul_f16_sdwa v48, v16, v51 dst_sel:DWORD dst_unused:UNUSED_PAD src0_sel:DWORD src1_sel:WORD_1
	v_fma_f16 v47, v68, v50, -v47
	ds_read_u16 v50, v25
	ds_read_u16 v58, v25 offset:288
	ds_read_u16 v60, v25 offset:576
	;; [unrolled: 1-line block ×3, first 2 shown]
	s_waitcnt vmcnt(0)
	v_mul_f16_sdwa v49, v69, v52 dst_sel:DWORD dst_unused:UNUSED_PAD src0_sel:DWORD src1_sel:WORD_1
	v_fmac_f16_e32 v14, v16, v51
	v_fma_f16 v16, v73, v51, -v48
	v_sub_f16_e32 v48, v10, v55
	v_sub_f16_e32 v51, v63, v77
	v_fmac_f16_e32 v49, v27, v52
	v_mul_f16_sdwa v27, v27, v52 dst_sel:DWORD dst_unused:UNUSED_PAD src0_sel:DWORD src1_sel:WORD_1
	v_mul_f16_sdwa v55, v76, v53 dst_sel:DWORD dst_unused:UNUSED_PAD src0_sel:DWORD src1_sel:WORD_1
	;; [unrolled: 1-line block ×3, first 2 shown]
	v_fma_f16 v10, v10, 2.0, -v48
	v_fma_f16 v37, v37, 2.0, -v39
	v_fma_f16 v27, v69, v52, -v27
	v_fma_f16 v52, v63, 2.0, -v51
	v_fmac_f16_e32 v55, v15, v53
	v_fma_f16 v15, v76, v53, -v56
	v_mul_f16_sdwa v53, v74, v54 dst_sel:DWORD dst_unused:UNUSED_PAD src0_sel:DWORD src1_sel:WORD_1
	v_mul_f16_sdwa v56, v9, v54 dst_sel:DWORD dst_unused:UNUSED_PAD src0_sel:DWORD src1_sel:WORD_1
	s_waitcnt lgkmcnt(2)
	v_sub_f16_e32 v35, v58, v35
	v_sub_f16_e32 v38, v50, v38
	;; [unrolled: 1-line block ×4, first 2 shown]
	v_fmac_f16_e32 v53, v9, v54
	v_fma_f16 v9, v74, v54, -v56
	v_fma_f16 v50, v50, 2.0, -v38
	v_sub_f16_e32 v51, v38, v51
	v_fma_f16 v34, v34, 2.0, -v36
	s_waitcnt lgkmcnt(1)
	v_sub_f16_e32 v32, v60, v32
	v_sub_f16_e32 v43, v41, v43
	v_sub_f16_e32 v56, v50, v37
	v_sub_f16_e32 v37, v8, v57
	v_fma_f16 v57, v38, 2.0, -v51
	v_fma_f16 v38, v58, 2.0, -v35
	;; [unrolled: 1-line block ×3, first 2 shown]
	v_cndmask_b32_e64 v54, 0, 0x6c0, s0
	v_fma_f16 v41, v41, 2.0, -v43
	s_waitcnt lgkmcnt(0)
	v_sub_f16_e32 v58, v38, v34
	v_fma_f16 v34, v60, 2.0, -v32
	s_barrier
	buffer_gl0_inv
	ds_write_b16 v25, v10
	v_add3_u32 v10, 0, v54, v11
	v_fma_f16 v11, v50, 2.0, -v56
	v_sub_f16_e32 v50, v79, v64
	v_sub_f16_e32 v28, v40, v28
	;; [unrolled: 1-line block ×3, first 2 shown]
	v_fma_f16 v64, v38, 2.0, -v58
	v_sub_f16_e32 v38, v61, v44
	v_sub_f16_e32 v41, v29, v45
	v_fma_f16 v40, v40, 2.0, -v28
	v_fma_f16 v66, v34, 2.0, -v63
	v_sub_f16_e32 v34, v6, v59
	v_sub_f16_e32 v30, v33, v30
	;; [unrolled: 1-line block ×3, first 2 shown]
	v_fma_f16 v28, v61, 2.0, -v38
	v_fma_f16 v29, v29, 2.0, -v41
	v_sub_f16_e32 v42, v7, v42
	v_sub_f16_e32 v16, v13, v16
	v_add_f16_e32 v41, v34, v41
	v_sub_f16_e32 v68, v38, v30
	v_sub_f16_e32 v67, v28, v29
	;; [unrolled: 1-line block ×5, first 2 shown]
	v_fma_f16 v8, v8, 2.0, -v37
	v_fma_f16 v54, v79, 2.0, -v50
	;; [unrolled: 1-line block ×10, first 2 shown]
	v_sub_f16_e32 v34, v5, v55
	v_sub_f16_e32 v38, v49, v53
	v_add_f16_e32 v39, v48, v39
	v_sub_f16_e32 v60, v35, v50
	v_fma_f16 v61, v32, 2.0, -v59
	v_fma_f16 v4, v4, 2.0, -v31
	;; [unrolled: 1-line block ×3, first 2 shown]
	v_sub_f16_e32 v15, v75, v15
	v_sub_f16_e32 v9, v27, v9
	;; [unrolled: 1-line block ×3, first 2 shown]
	v_add_f16_e32 v36, v37, v36
	v_sub_f16_e32 v40, v7, v40
	v_sub_f16_e32 v13, v30, v13
	v_add_f16_e32 v16, v31, v16
	v_fma_f16 v5, v5, 2.0, -v34
	v_fma_f16 v44, v49, 2.0, -v38
	;; [unrolled: 1-line block ×4, first 2 shown]
	v_add_f16_e32 v35, v42, v43
	v_sub_f16_e32 v32, v4, v32
	v_fma_f16 v43, v75, 2.0, -v15
	v_fma_f16 v27, v27, 2.0, -v9
	;; [unrolled: 1-line block ×3, first 2 shown]
	v_sub_f16_e32 v33, v6, v33
	v_fma_f16 v37, v37, 2.0, -v36
	v_fma_f16 v7, v7, 2.0, -v40
	;; [unrolled: 1-line block ×4, first 2 shown]
	v_sub_f16_e32 v31, v5, v44
	v_add_f16_e32 v9, v34, v9
	v_fma_f16 v42, v42, 2.0, -v35
	v_fma_f16 v4, v4, 2.0, -v32
	v_sub_f16_e32 v14, v29, v14
	v_sub_f16_e32 v55, v43, v27
	ds_write_b16 v25, v48 offset:432
	ds_write_b16 v25, v52 offset:864
	;; [unrolled: 1-line block ×3, first 2 shown]
	ds_write_b16 v10, v8
	ds_write_b16 v10, v37 offset:432
	ds_write_b16 v10, v54 offset:864
	;; [unrolled: 1-line block ×4, first 2 shown]
	v_lshl_add_u32 v7, v12, 1, 0
	v_fma_f16 v6, v6, 2.0, -v33
	v_fma_f16 v5, v5, 2.0, -v31
	v_fma_f16 v27, v34, 2.0, -v9
	v_sub_f16_e32 v70, v15, v38
	v_fma_f16 v71, v29, 2.0, -v14
	v_fma_f16 v72, v43, 2.0, -v55
	ds_write_b16 v26, v42 offset:2304
	ds_write_b16 v26, v40 offset:2736
	;; [unrolled: 1-line block ×7, first 2 shown]
	ds_write_b16 v1, v4
	ds_write_b16 v1, v30 offset:432
	ds_write_b16 v1, v32 offset:864
	;; [unrolled: 1-line block ×7, first 2 shown]
	s_waitcnt lgkmcnt(0)
	s_barrier
	buffer_gl0_inv
	ds_read_u16 v33, v25 offset:2304
	ds_read_u16 v41, v25
	ds_read_u16 v27, v25 offset:288
	ds_read_u16 v28, v25 offset:576
	;; [unrolled: 1-line block ×22, first 2 shown]
	v_fma_f16 v15, v15, 2.0, -v70
	s_waitcnt lgkmcnt(0)
	s_barrier
	buffer_gl0_inv
	ds_write_b16 v25, v11
	ds_write_b16 v25, v57 offset:432
	ds_write_b16 v25, v56 offset:864
	ds_write_b16 v25, v51 offset:1296
	ds_write_b16 v10, v64
	ds_write_b16 v10, v65 offset:432
	ds_write_b16 v10, v58 offset:864
	;; [unrolled: 1-line block ×11, first 2 shown]
	ds_write_b16 v1, v53
	ds_write_b16 v1, v71 offset:432
	ds_write_b16 v1, v13 offset:864
	;; [unrolled: 1-line block ×7, first 2 shown]
	s_waitcnt lgkmcnt(0)
	s_barrier
	buffer_gl0_inv
	s_and_saveexec_b32 s0, vcc_lo
	s_cbranch_execz .LBB0_15
; %bb.14:
	v_mul_u32_u24_e32 v1, 3, v0
	v_add_co_u32 v2, s0, s12, v3
	v_add_co_ci_u32_e64 v3, null, s13, 0, s0
	v_lshlrev_b32_e32 v4, 2, v1
	v_add_co_u32 v1, vcc_lo, 0x800, v2
	v_add_co_ci_u32_e32 v2, vcc_lo, 0, v3, vcc_lo
	v_add_co_u32 v3, s0, s12, v4
	v_add_co_ci_u32_e64 v4, null, s13, 0, s0
	v_mad_u32_u24 v22, v0, 3, 0xfffffe50
	global_load_dwordx3 v[15:17], v[1:2], off offset:1384
	v_add_co_u32 v1, vcc_lo, 0x800, v3
	v_add_co_ci_u32_e32 v2, vcc_lo, 0, v4, vcc_lo
	v_lshlrev_b64 v[3:4], 2, v[22:23]
	v_mad_u32_u24 v22, v0, 3, 0xfffffca0
	v_add_nc_u32_e32 v61, 0x90, v24
	global_load_dwordx3 v[12:14], v[1:2], off offset:1384
	v_mul_lo_u32 v58, s2, v21
	v_mad_u64_u32 v[55:56], null, s2, v20, 0
	v_add_co_u32 v1, vcc_lo, s12, v3
	v_add_co_ci_u32_e32 v2, vcc_lo, s13, v4, vcc_lo
	v_lshrrev_b32_e32 v63, 5, v24
	v_add_co_u32 v1, vcc_lo, 0x800, v1
	v_add_co_ci_u32_e32 v2, vcc_lo, 0, v2, vcc_lo
	v_lshrrev_b32_e32 v65, 5, v61
	v_add_nc_u32_e32 v64, 0x120, v24
	v_add_nc_u32_e32 v66, 0x1b0, v24
	global_load_dwordx3 v[9:11], v[1:2], off offset:1384
	v_lshlrev_b64 v[1:2], 2, v[22:23]
	v_mad_u32_u24 v22, v0, 3, 0xfffffaf0
	v_mul_hi_u32 v69, 0x97b425f, v63
	v_lshrrev_b32_e32 v67, 5, v64
	v_lshrrev_b32_e32 v68, 5, v66
	v_lshlrev_b64 v[18:19], 2, v[18:19]
	v_add_co_u32 v1, vcc_lo, s12, v1
	v_add_co_ci_u32_e32 v2, vcc_lo, s13, v2, vcc_lo
	v_mul_hi_u32 v76, 0x97b425f, v67
	v_add_co_u32 v1, vcc_lo, 0x800, v1
	v_add_co_ci_u32_e32 v2, vcc_lo, 0, v2, vcc_lo
	v_mul_hi_u32 v80, 0x97b425f, v68
	v_mov_b32_e32 v57, v23
	v_mov_b32_e32 v59, v23
	global_load_dwordx3 v[6:8], v[1:2], off offset:1384
	v_lshlrev_b64 v[1:2], 2, v[22:23]
	v_mad_u32_u24 v22, v0, 3, 0xfffff940
	v_mul_u32_u24_e32 v68, 0x360, v76
	v_mov_b32_e32 v62, v23
	v_mov_b32_e32 v63, v23
	v_add_nc_u32_e32 v100, 0x240, v24
	v_add_co_u32 v1, vcc_lo, s12, v1
	v_add_co_ci_u32_e32 v2, vcc_lo, s13, v2, vcc_lo
	v_sub_nc_u32_e32 v64, v64, v68
	v_add_co_u32 v1, vcc_lo, 0x800, v1
	v_add_co_ci_u32_e32 v2, vcc_lo, 0, v2, vcc_lo
	v_lshrrev_b32_e32 v70, 5, v100
	v_mov_b32_e32 v60, v23
	global_load_dwordx3 v[3:5], v[1:2], off offset:1384
	v_lshlrev_b64 v[0:1], 2, v[22:23]
	v_mul_lo_u32 v22, s3, v20
	v_mul_hi_u32 v101, 0x97b425f, v70
	v_add_co_u32 v0, vcc_lo, s12, v0
	v_add_co_ci_u32_e32 v1, vcc_lo, s13, v1, vcc_lo
	v_add3_u32 v56, v56, v58, v22
	v_add_co_u32 v0, vcc_lo, 0x800, v0
	v_add_co_ci_u32_e32 v1, vcc_lo, 0, v1, vcc_lo
	v_mul_hi_u32 v22, 0x97b425f, v65
	v_lshlrev_b64 v[55:56], 2, v[55:56]
	v_mul_u32_u24_e32 v58, 0x360, v69
	global_load_dwordx3 v[0:2], v[0:1], off offset:1384
	v_mul_u32_u24_e32 v69, 0x360, v80
	ds_read_u16 v54, v25 offset:4896
	ds_read_u16 v20, v26 offset:1440
	;; [unrolled: 1-line block ×16, first 2 shown]
	v_sub_nc_u32_e32 v58, v24, v58
	v_mul_u32_u24_e32 v67, 0x360, v22
	v_add_co_u32 v55, vcc_lo, s10, v55
	v_add_co_ci_u32_e32 v56, vcc_lo, s11, v56, vcc_lo
	v_sub_nc_u32_e32 v61, v61, v67
	v_lshlrev_b32_e32 v58, 2, v58
	v_add_co_u32 v102, vcc_lo, v55, v18
	v_add_co_ci_u32_e32 v103, vcc_lo, v56, v19, vcc_lo
	v_mad_u32_u24 v22, 0xd80, v22, v61
	v_sub_nc_u32_e32 v81, v66, v69
	v_add_co_u32 v18, vcc_lo, v102, v58
	ds_read_u16 v93, v25
	v_lshlrev_b64 v[66:67], 2, v[22:23]
	v_add_nc_u32_e32 v56, 0x360, v22
	v_add_nc_u32_e32 v58, 0x6c0, v22
	;; [unrolled: 1-line block ×3, first 2 shown]
	ds_read_u16 v94, v25 offset:2304
	ds_read_u16 v95, v25 offset:2016
	;; [unrolled: 1-line block ×7, first 2 shown]
	v_add_co_ci_u32_e32 v19, vcc_lo, 0, v103, vcc_lo
	v_lshlrev_b64 v[55:56], 2, v[56:57]
	v_lshlrev_b64 v[74:75], 2, v[22:23]
	v_mad_u32_u24 v22, 0xd80, v76, v64
	v_lshlrev_b64 v[57:58], 2, v[58:59]
	v_add_co_u32 v68, vcc_lo, 0x2800, v18
	v_add_co_ci_u32_e32 v69, vcc_lo, 0, v19, vcc_lo
	v_lshlrev_b64 v[76:77], 2, v[22:23]
	v_add_nc_u32_e32 v59, 0x360, v22
	v_add_nc_u32_e32 v61, 0x6c0, v22
	;; [unrolled: 1-line block ×3, first 2 shown]
	v_add_co_u32 v70, vcc_lo, 0x800, v18
	v_add_co_ci_u32_e32 v71, vcc_lo, 0, v19, vcc_lo
	v_lshlrev_b64 v[78:79], 2, v[22:23]
	v_mad_u32_u24 v22, 0xd80, v80, v81
	v_lshlrev_b64 v[80:81], 2, v[61:62]
	v_add_co_u32 v72, vcc_lo, 0x1800, v18
	v_add_co_ci_u32_e32 v73, vcc_lo, 0, v19, vcc_lo
	v_add_nc_u32_e32 v62, 0x360, v22
	v_add_co_u32 v66, vcc_lo, v102, v66
	v_add_co_ci_u32_e32 v67, vcc_lo, v103, v67, vcc_lo
	v_lshlrev_b64 v[61:62], 2, v[62:63]
	v_add_co_u32 v55, vcc_lo, v102, v55
	v_add_co_ci_u32_e32 v56, vcc_lo, v103, v56, vcc_lo
	v_add_co_u32 v57, vcc_lo, v102, v57
	v_add_co_ci_u32_e32 v58, vcc_lo, v103, v58, vcc_lo
	v_add_co_u32 v74, vcc_lo, v102, v74
	v_lshlrev_b64 v[59:60], 2, v[59:60]
	v_add_co_ci_u32_e32 v75, vcc_lo, v103, v75, vcc_lo
	v_add_co_u32 v76, vcc_lo, v102, v76
	v_add_co_ci_u32_e32 v77, vcc_lo, v103, v77, vcc_lo
	v_add_co_u32 v59, vcc_lo, v102, v59
	v_add_co_ci_u32_e32 v60, vcc_lo, v103, v60, vcc_lo
	v_lshlrev_b64 v[82:83], 2, v[22:23]
	v_add_co_u32 v80, vcc_lo, v102, v80
	v_mov_b32_e32 v65, v23
	v_add_nc_u32_e32 v64, 0x6c0, v22
	v_add_co_ci_u32_e32 v81, vcc_lo, v103, v81, vcc_lo
	v_add_co_u32 v78, vcc_lo, v102, v78
	v_add_co_ci_u32_e32 v79, vcc_lo, v103, v79, vcc_lo
	v_add_nc_u32_e32 v22, 0xa20, v22
	s_waitcnt vmcnt(5) lgkmcnt(17)
	v_mul_f16_sdwa v63, v16, v85 dst_sel:DWORD dst_unused:UNUSED_PAD src0_sel:WORD_1 src1_sel:DWORD
	v_mul_f16_sdwa v104, v49, v16 dst_sel:DWORD dst_unused:UNUSED_PAD src0_sel:DWORD src1_sel:WORD_1
	v_mul_f16_sdwa v105, v47, v15 dst_sel:DWORD dst_unused:UNUSED_PAD src0_sel:DWORD src1_sel:WORD_1
	;; [unrolled: 1-line block ×3, first 2 shown]
	s_waitcnt lgkmcnt(4)
	v_mul_f16_sdwa v107, v96, v15 dst_sel:DWORD dst_unused:UNUSED_PAD src0_sel:DWORD src1_sel:WORD_1
	v_fmac_f16_e32 v63, v49, v16
	v_mul_f16_sdwa v49, v92, v17 dst_sel:DWORD dst_unused:UNUSED_PAD src0_sel:DWORD src1_sel:WORD_1
	v_fma_f16 v16, v16, v85, -v104
	v_fma_f16 v85, v15, v96, -v105
	;; [unrolled: 1-line block ×3, first 2 shown]
	v_fmac_f16_e32 v107, v47, v15
	v_fmac_f16_e32 v49, v50, v17
	s_waitcnt vmcnt(4)
	v_mul_f16_sdwa v15, v13, v54 dst_sel:DWORD dst_unused:UNUSED_PAD src0_sel:WORD_1 src1_sel:DWORD
	v_mul_f16_sdwa v17, v45, v12 dst_sel:DWORD dst_unused:UNUSED_PAD src0_sel:DWORD src1_sel:WORD_1
	v_mul_f16_sdwa v47, v46, v14 dst_sel:DWORD dst_unused:UNUSED_PAD src0_sel:DWORD src1_sel:WORD_1
	;; [unrolled: 1-line block ×5, first 2 shown]
	v_sub_f16_e32 v63, v41, v63
	v_sub_f16_e32 v92, v85, v92
	;; [unrolled: 1-line block ×4, first 2 shown]
	v_fmac_f16_e32 v15, v48, v13
	v_fma_f16 v17, v12, v86, -v17
	s_waitcnt vmcnt(3)
	v_mul_f16_sdwa v105, v10, v84 dst_sel:DWORD dst_unused:UNUSED_PAD src0_sel:WORD_1 src1_sel:DWORD
	v_mul_f16_sdwa v106, v44, v10 dst_sel:DWORD dst_unused:UNUSED_PAD src0_sel:DWORD src1_sel:WORD_1
	v_mul_f16_sdwa v48, v42, v9 dst_sel:DWORD dst_unused:UNUSED_PAD src0_sel:DWORD src1_sel:WORD_1
	;; [unrolled: 1-line block ×3, first 2 shown]
	v_fma_f16 v47, v14, v89, -v47
	v_mul_f16_sdwa v89, v87, v9 dst_sel:DWORD dst_unused:UNUSED_PAD src0_sel:DWORD src1_sel:WORD_1
	v_fma_f16 v13, v13, v54, -v50
	v_mul_f16_sdwa v50, v90, v11 dst_sel:DWORD dst_unused:UNUSED_PAD src0_sel:DWORD src1_sel:WORD_1
	v_fmac_f16_e32 v96, v45, v12
	v_fmac_f16_e32 v104, v46, v14
	v_add_f16_e32 v12, v63, v92
	v_sub_f16_e32 v14, v16, v49
	v_fma_f16 v45, v107, 2.0, -v49
	v_fma_f16 v46, v85, 2.0, -v92
	;; [unrolled: 1-line block ×4, first 2 shown]
	v_fmac_f16_e32 v105, v44, v10
	v_fma_f16 v10, v10, v84, -v106
	v_fma_f16 v44, v9, v87, -v48
	;; [unrolled: 1-line block ×3, first 2 shown]
	v_fmac_f16_e32 v89, v42, v9
	v_fmac_f16_e32 v50, v43, v11
	s_waitcnt vmcnt(2)
	v_mul_f16_sdwa v9, v7, v53 dst_sel:DWORD dst_unused:UNUSED_PAD src0_sel:WORD_1 src1_sel:DWORD
	v_mul_f16_sdwa v11, v38, v6 dst_sel:DWORD dst_unused:UNUSED_PAD src0_sel:DWORD src1_sel:WORD_1
	v_mul_f16_sdwa v42, v39, v8 dst_sel:DWORD dst_unused:UNUSED_PAD src0_sel:DWORD src1_sel:WORD_1
	;; [unrolled: 1-line block ×5, first 2 shown]
	v_pack_b32_f16 v85, v12, v14
	v_fma_f16 v12, v63, 2.0, -v12
	v_fma_f16 v14, v16, 2.0, -v14
	v_sub_f16_e32 v15, v37, v15
	v_sub_f16_e32 v16, v17, v47
	;; [unrolled: 1-line block ×5, first 2 shown]
	v_fmac_f16_e32 v9, v40, v7
	v_fma_f16 v11, v6, v88, -v11
	v_fma_f16 v40, v8, v91, -v42
	v_fma_f16 v7, v7, v53, -v43
	v_fmac_f16_e32 v54, v38, v6
	v_fmac_f16_e32 v84, v39, v8
	s_waitcnt vmcnt(1)
	v_mul_f16_sdwa v6, v4, v51 dst_sel:DWORD dst_unused:UNUSED_PAD src0_sel:WORD_1 src1_sel:DWORD
	v_mul_f16_sdwa v8, v33, v3 dst_sel:DWORD dst_unused:UNUSED_PAD src0_sel:DWORD src1_sel:WORD_1
	v_mul_f16_sdwa v38, v35, v5 dst_sel:DWORD dst_unused:UNUSED_PAD src0_sel:DWORD src1_sel:WORD_1
	;; [unrolled: 1-line block ×5, first 2 shown]
	v_pack_b32_f16 v12, v12, v14
	v_fma_f16 v14, v17, 2.0, -v16
	v_fma_f16 v17, v96, 2.0, -v47
	;; [unrolled: 1-line block ×5, first 2 shown]
	v_fmac_f16_e32 v6, v36, v4
	v_fma_f16 v8, v3, v94, -v8
	v_fma_f16 v36, v5, v52, -v38
	;; [unrolled: 1-line block ×3, first 2 shown]
	v_fmac_f16_e32 v42, v33, v3
	v_fmac_f16_e32 v43, v35, v5
	s_waitcnt vmcnt(0)
	v_mul_f16_sdwa v3, v1, v21 dst_sel:DWORD dst_unused:UNUSED_PAD src0_sel:WORD_1 src1_sel:DWORD
	v_mul_f16_sdwa v5, v31, v1 dst_sel:DWORD dst_unused:UNUSED_PAD src0_sel:DWORD src1_sel:WORD_1
	v_mul_f16_sdwa v33, v30, v0 dst_sel:DWORD dst_unused:UNUSED_PAD src0_sel:DWORD src1_sel:WORD_1
	v_mul_f16_sdwa v35, v32, v2 dst_sel:DWORD dst_unused:UNUSED_PAD src0_sel:DWORD src1_sel:WORD_1
	v_mul_f16_sdwa v38, v95, v0 dst_sel:DWORD dst_unused:UNUSED_PAD src0_sel:DWORD src1_sel:WORD_1
	v_mul_f16_sdwa v39, v26, v2 dst_sel:DWORD dst_unused:UNUSED_PAD src0_sel:DWORD src1_sel:WORD_1
	v_pack_b32_f16 v45, v45, v46
	global_store_dword v[68:69], v85, off offset:128
	v_sub_f16_e32 v17, v37, v17
	v_pack_b32_f16 v41, v41, v49
	global_store_dword v[70:71], v12, off offset:1408
	global_store_dword v[72:73], v45, off offset:768
	v_fmac_f16_e32 v3, v31, v1
	v_fma_f16 v1, v1, v21, -v5
	v_fma_f16 v5, v0, v95, -v33
	;; [unrolled: 1-line block ×3, first 2 shown]
	v_fmac_f16_e32 v38, v30, v0
	v_fmac_f16_e32 v39, v32, v2
	v_sub_f16_e32 v0, v8, v36
	v_sub_f16_e32 v2, v28, v6
	;; [unrolled: 1-line block ×3, first 2 shown]
	s_waitcnt lgkmcnt(1)
	v_sub_f16_e32 v4, v99, v4
	v_sub_f16_e32 v9, v29, v9
	;; [unrolled: 1-line block ×3, first 2 shown]
	v_fma_f16 v36, v37, 2.0, -v17
	global_store_dword v[18:19], v41, off
	v_fma_f16 v8, v8, 2.0, -v0
	v_add_f16_e32 v0, v2, v0
	v_fma_f16 v18, v42, 2.0, -v6
	v_sub_f16_e32 v6, v4, v6
	v_sub_f16_e32 v12, v5, v12
	v_sub_f16_e32 v3, v27, v3
	v_sub_f16_e32 v37, v38, v39
	s_waitcnt lgkmcnt(0)
	v_sub_f16_e32 v1, v25, v1
	v_fma_f16 v19, v28, 2.0, -v2
	v_fma_f16 v11, v11, 2.0, -v40
	v_add_f16_e32 v31, v9, v40
	v_fma_f16 v28, v99, 2.0, -v4
	v_fma_f16 v4, v4, 2.0, -v6
	v_pack_b32_f16 v40, v0, v6
	v_fma_f16 v5, v5, 2.0, -v12
	v_add_f16_e32 v6, v3, v12
	v_fma_f16 v12, v38, 2.0, -v37
	v_fma_f16 v27, v27, 2.0, -v3
	;; [unrolled: 1-line block ×3, first 2 shown]
	v_sub_f16_e32 v7, v98, v7
	v_sub_f16_e32 v52, v54, v84
	v_fma_f16 v2, v2, 2.0, -v0
	v_sub_f16_e32 v0, v19, v18
	v_sub_f16_e32 v18, v1, v37
	v_sub_f16_e32 v12, v27, v12
	v_sub_f16_e32 v5, v25, v5
	v_sub_f16_e32 v8, v28, v8
	v_fma_f16 v32, v54, 2.0, -v52
	v_fma_f16 v29, v29, 2.0, -v9
	;; [unrolled: 1-line block ×5, first 2 shown]
	v_pack_b32_f16 v6, v6, v18
	v_pack_b32_f16 v2, v2, v4
	v_fma_f16 v4, v19, 2.0, -v0
	v_fma_f16 v18, v27, 2.0, -v12
	;; [unrolled: 1-line block ×4, first 2 shown]
	v_sub_f16_e32 v32, v29, v32
	v_sub_f16_e32 v11, v35, v11
	v_pack_b32_f16 v1, v3, v1
	v_sub_f16_e32 v33, v7, v52
	v_pack_b32_f16 v3, v12, v5
	v_pack_b32_f16 v5, v18, v19
	;; [unrolled: 1-line block ×4, first 2 shown]
	global_store_dword v[74:75], v6, off
	global_store_dword v[55:56], v1, off
	;; [unrolled: 1-line block ×7, first 2 shown]
	v_add_co_u32 v0, vcc_lo, v102, v82
	v_lshlrev_b64 v[2:3], 2, v[64:65]
	v_fma_f16 v29, v29, 2.0, -v32
	v_fma_f16 v35, v35, 2.0, -v11
	;; [unrolled: 1-line block ×4, first 2 shown]
	v_add_co_ci_u32_e32 v1, vcc_lo, v103, v83, vcc_lo
	v_mul_u32_u24_e32 v6, 0x360, v101
	v_add_co_u32 v4, vcc_lo, v102, v61
	v_add_co_ci_u32_e32 v5, vcc_lo, v103, v62, vcc_lo
	v_pack_b32_f16 v8, v29, v35
	v_add_co_u32 v2, vcc_lo, v102, v2
	v_pack_b32_f16 v9, v9, v7
	v_sub_nc_u32_e32 v12, v100, v6
	v_lshlrev_b64 v[6:7], 2, v[22:23]
	v_add_co_ci_u32_e32 v3, vcc_lo, v103, v3, vcc_lo
	v_pack_b32_f16 v11, v32, v11
	global_store_dword v[78:79], v40, off
	global_store_dword v[0:1], v8, off
	;; [unrolled: 1-line block ×4, first 2 shown]
	v_add_nc_u32_e32 v8, 0x2d0, v24
	v_add_co_u32 v2, vcc_lo, v102, v6
	v_add_co_ci_u32_e32 v3, vcc_lo, v103, v7, vcc_lo
	v_lshrrev_b32_e32 v7, 5, v8
	v_sub_f16_e32 v53, v34, v105
	v_sub_f16_e32 v48, v44, v48
	v_sub_f16_e32 v10, v97, v10
	v_sub_f16_e32 v50, v89, v50
	v_mad_u32_u24 v22, 0xd80, v101, v12
	v_mul_hi_u32 v12, 0x97b425f, v7
	v_fma_f16 v44, v44, 2.0, -v48
	v_add_f16_e32 v46, v53, v48
	v_fma_f16 v48, v89, 2.0, -v50
	v_fma_f16 v34, v34, 2.0, -v53
	;; [unrolled: 1-line block ×3, first 2 shown]
	v_add_nc_u32_e32 v0, 0x360, v22
	v_mov_b32_e32 v1, v23
	v_lshlrev_b64 v[4:5], 2, v[22:23]
	v_add_nc_u32_e32 v6, 0x6c0, v22
	v_mov_b32_e32 v7, v23
	v_mul_u32_u24_e32 v9, 0x360, v12
	v_sub_f16_e32 v26, v34, v48
	v_sub_f16_e32 v30, v51, v44
	;; [unrolled: 1-line block ×3, first 2 shown]
	v_lshlrev_b64 v[0:1], 2, v[0:1]
	v_add_co_u32 v4, vcc_lo, v102, v4
	v_lshlrev_b64 v[6:7], 2, v[6:7]
	v_add_nc_u32_e32 v22, 0xa20, v22
	v_sub_nc_u32_e32 v19, v8, v9
	v_fma_f16 v34, v34, 2.0, -v26
	v_fma_f16 v39, v51, 2.0, -v30
	;; [unrolled: 1-line block ×4, first 2 shown]
	v_add_co_ci_u32_e32 v5, vcc_lo, v103, v5, vcc_lo
	v_add_co_u32 v0, vcc_lo, v102, v0
	v_pack_b32_f16 v11, v31, v33
	v_add_co_ci_u32_e32 v1, vcc_lo, v103, v1, vcc_lo
	v_lshlrev_b64 v[8:9], 2, v[22:23]
	v_mad_u32_u24 v22, 0xd80, v12, v19
	v_sub_f16_e32 v13, v20, v13
	v_pack_b32_f16 v18, v34, v39
	v_add_co_u32 v6, vcc_lo, v102, v6
	v_pack_b32_f16 v10, v21, v10
	v_add_co_ci_u32_e32 v7, vcc_lo, v103, v7, vcc_lo
	v_pack_b32_f16 v21, v26, v30
	global_store_dword v[2:3], v11, off
	global_store_dword v[4:5], v18, off
	global_store_dword v[0:1], v10, off
	global_store_dword v[6:7], v21, off
	v_add_nc_u32_e32 v0, 0x360, v22
	v_mov_b32_e32 v1, v23
	v_fma_f16 v20, v20, 2.0, -v13
	v_lshlrev_b64 v[4:5], 2, v[22:23]
	v_add_nc_u32_e32 v6, 0x6c0, v22
	v_mov_b32_e32 v7, v23
	v_add_co_u32 v2, vcc_lo, v102, v8
	v_lshlrev_b64 v[0:1], 2, v[0:1]
	v_sub_f16_e32 v14, v20, v14
	v_add_nc_u32_e32 v22, 0xa20, v22
	v_add_f16_e32 v16, v15, v16
	v_sub_f16_e32 v47, v13, v47
	v_add_co_ci_u32_e32 v3, vcc_lo, v103, v9, vcc_lo
	v_add_co_u32 v4, vcc_lo, v102, v4
	v_lshlrev_b64 v[6:7], 2, v[6:7]
	v_add_co_ci_u32_e32 v5, vcc_lo, v103, v5, vcc_lo
	v_fma_f16 v20, v20, 2.0, -v14
	v_add_co_u32 v0, vcc_lo, v102, v0
	v_lshlrev_b64 v[8:9], 2, v[22:23]
	v_fma_f16 v15, v15, 2.0, -v16
	v_fma_f16 v13, v13, 2.0, -v47
	v_add_co_ci_u32_e32 v1, vcc_lo, v103, v1, vcc_lo
	v_add_co_u32 v6, vcc_lo, v102, v6
	v_pack_b32_f16 v10, v46, v50
	v_pack_b32_f16 v11, v36, v20
	v_add_co_ci_u32_e32 v7, vcc_lo, v103, v7, vcc_lo
	v_pack_b32_f16 v12, v15, v13
	v_add_co_u32 v8, vcc_lo, v102, v8
	v_pack_b32_f16 v13, v17, v14
	v_add_co_ci_u32_e32 v9, vcc_lo, v103, v9, vcc_lo
	v_pack_b32_f16 v14, v16, v47
	global_store_dword v[2:3], v10, off
	global_store_dword v[4:5], v11, off
	;; [unrolled: 1-line block ×5, first 2 shown]
.LBB0_15:
	s_endpgm
	.section	.rodata,"a",@progbits
	.p2align	6, 0x0
	.amdhsa_kernel fft_rtc_back_len3456_factors_6_6_6_4_4_wgs_144_tpt_144_halfLds_half_op_CI_CI_unitstride_sbrr_dirReg
		.amdhsa_group_segment_fixed_size 0
		.amdhsa_private_segment_fixed_size 0
		.amdhsa_kernarg_size 104
		.amdhsa_user_sgpr_count 6
		.amdhsa_user_sgpr_private_segment_buffer 1
		.amdhsa_user_sgpr_dispatch_ptr 0
		.amdhsa_user_sgpr_queue_ptr 0
		.amdhsa_user_sgpr_kernarg_segment_ptr 1
		.amdhsa_user_sgpr_dispatch_id 0
		.amdhsa_user_sgpr_flat_scratch_init 0
		.amdhsa_user_sgpr_private_segment_size 0
		.amdhsa_wavefront_size32 1
		.amdhsa_uses_dynamic_stack 0
		.amdhsa_system_sgpr_private_segment_wavefront_offset 0
		.amdhsa_system_sgpr_workgroup_id_x 1
		.amdhsa_system_sgpr_workgroup_id_y 0
		.amdhsa_system_sgpr_workgroup_id_z 0
		.amdhsa_system_sgpr_workgroup_info 0
		.amdhsa_system_vgpr_workitem_id 0
		.amdhsa_next_free_vgpr 108
		.amdhsa_next_free_sgpr 27
		.amdhsa_reserve_vcc 1
		.amdhsa_reserve_flat_scratch 0
		.amdhsa_float_round_mode_32 0
		.amdhsa_float_round_mode_16_64 0
		.amdhsa_float_denorm_mode_32 3
		.amdhsa_float_denorm_mode_16_64 3
		.amdhsa_dx10_clamp 1
		.amdhsa_ieee_mode 1
		.amdhsa_fp16_overflow 0
		.amdhsa_workgroup_processor_mode 1
		.amdhsa_memory_ordered 1
		.amdhsa_forward_progress 0
		.amdhsa_shared_vgpr_count 0
		.amdhsa_exception_fp_ieee_invalid_op 0
		.amdhsa_exception_fp_denorm_src 0
		.amdhsa_exception_fp_ieee_div_zero 0
		.amdhsa_exception_fp_ieee_overflow 0
		.amdhsa_exception_fp_ieee_underflow 0
		.amdhsa_exception_fp_ieee_inexact 0
		.amdhsa_exception_int_div_zero 0
	.end_amdhsa_kernel
	.text
.Lfunc_end0:
	.size	fft_rtc_back_len3456_factors_6_6_6_4_4_wgs_144_tpt_144_halfLds_half_op_CI_CI_unitstride_sbrr_dirReg, .Lfunc_end0-fft_rtc_back_len3456_factors_6_6_6_4_4_wgs_144_tpt_144_halfLds_half_op_CI_CI_unitstride_sbrr_dirReg
                                        ; -- End function
	.section	.AMDGPU.csdata,"",@progbits
; Kernel info:
; codeLenInByte = 14308
; NumSgprs: 29
; NumVgprs: 108
; ScratchSize: 0
; MemoryBound: 0
; FloatMode: 240
; IeeeMode: 1
; LDSByteSize: 0 bytes/workgroup (compile time only)
; SGPRBlocks: 3
; VGPRBlocks: 13
; NumSGPRsForWavesPerEU: 29
; NumVGPRsForWavesPerEU: 108
; Occupancy: 9
; WaveLimiterHint : 1
; COMPUTE_PGM_RSRC2:SCRATCH_EN: 0
; COMPUTE_PGM_RSRC2:USER_SGPR: 6
; COMPUTE_PGM_RSRC2:TRAP_HANDLER: 0
; COMPUTE_PGM_RSRC2:TGID_X_EN: 1
; COMPUTE_PGM_RSRC2:TGID_Y_EN: 0
; COMPUTE_PGM_RSRC2:TGID_Z_EN: 0
; COMPUTE_PGM_RSRC2:TIDIG_COMP_CNT: 0
	.text
	.p2alignl 6, 3214868480
	.fill 48, 4, 3214868480
	.type	__hip_cuid_7eab4416131c33df,@object ; @__hip_cuid_7eab4416131c33df
	.section	.bss,"aw",@nobits
	.globl	__hip_cuid_7eab4416131c33df
__hip_cuid_7eab4416131c33df:
	.byte	0                               ; 0x0
	.size	__hip_cuid_7eab4416131c33df, 1

	.ident	"AMD clang version 19.0.0git (https://github.com/RadeonOpenCompute/llvm-project roc-6.4.0 25133 c7fe45cf4b819c5991fe208aaa96edf142730f1d)"
	.section	".note.GNU-stack","",@progbits
	.addrsig
	.addrsig_sym __hip_cuid_7eab4416131c33df
	.amdgpu_metadata
---
amdhsa.kernels:
  - .args:
      - .actual_access:  read_only
        .address_space:  global
        .offset:         0
        .size:           8
        .value_kind:     global_buffer
      - .offset:         8
        .size:           8
        .value_kind:     by_value
      - .actual_access:  read_only
        .address_space:  global
        .offset:         16
        .size:           8
        .value_kind:     global_buffer
      - .actual_access:  read_only
        .address_space:  global
        .offset:         24
        .size:           8
        .value_kind:     global_buffer
      - .actual_access:  read_only
        .address_space:  global
        .offset:         32
        .size:           8
        .value_kind:     global_buffer
      - .offset:         40
        .size:           8
        .value_kind:     by_value
      - .actual_access:  read_only
        .address_space:  global
        .offset:         48
        .size:           8
        .value_kind:     global_buffer
      - .actual_access:  read_only
        .address_space:  global
        .offset:         56
        .size:           8
        .value_kind:     global_buffer
      - .offset:         64
        .size:           4
        .value_kind:     by_value
      - .actual_access:  read_only
        .address_space:  global
        .offset:         72
        .size:           8
        .value_kind:     global_buffer
      - .actual_access:  read_only
        .address_space:  global
        .offset:         80
        .size:           8
        .value_kind:     global_buffer
      - .actual_access:  read_only
        .address_space:  global
        .offset:         88
        .size:           8
        .value_kind:     global_buffer
      - .actual_access:  write_only
        .address_space:  global
        .offset:         96
        .size:           8
        .value_kind:     global_buffer
    .group_segment_fixed_size: 0
    .kernarg_segment_align: 8
    .kernarg_segment_size: 104
    .language:       OpenCL C
    .language_version:
      - 2
      - 0
    .max_flat_workgroup_size: 144
    .name:           fft_rtc_back_len3456_factors_6_6_6_4_4_wgs_144_tpt_144_halfLds_half_op_CI_CI_unitstride_sbrr_dirReg
    .private_segment_fixed_size: 0
    .sgpr_count:     29
    .sgpr_spill_count: 0
    .symbol:         fft_rtc_back_len3456_factors_6_6_6_4_4_wgs_144_tpt_144_halfLds_half_op_CI_CI_unitstride_sbrr_dirReg.kd
    .uniform_work_group_size: 1
    .uses_dynamic_stack: false
    .vgpr_count:     108
    .vgpr_spill_count: 0
    .wavefront_size: 32
    .workgroup_processor_mode: 1
amdhsa.target:   amdgcn-amd-amdhsa--gfx1030
amdhsa.version:
  - 1
  - 2
...

	.end_amdgpu_metadata
